;; amdgpu-corpus repo=ROCm/aiter kind=harvested arch=n/a opt=n/a

/root/src/amdgpu-assembly/repos/ROCm__aiter/hsa/gfx950/fmoe/gelu/fmoe_f16_pertokenMXfp4_g1u1_novs_gelu_2tg_32x256.co:	file format elf64-amdgpu

Disassembly of section .text:

0000000000002e00 <_ZN5aiter48fmoe_f16_pertokenMXfp4_g1u1_novs_gelu_2tg_32x256E>:
	s_and_b32 s1, s1, 0xffff                                   // 000000002E00: 8601FF01 0000FFFF
	s_load_dwordx2 s[8:9], s[0:1], 0x0                         // 000000002E08: C0060200 00000000
	s_load_dwordx2 s[20:21], s[0:1], 0x10                      // 000000002E10: C0060500 00000010
	s_load_dwordx2 s[24:25], s[0:1], 0x20                      // 000000002E18: C0060600 00000020
	s_load_dwordx2 s[50:51], s[0:1], 0x30                      // 000000002E20: C0060C80 00000030
	s_load_dwordx2 s[12:13], s[0:1], 0x40                      // 000000002E28: C0060300 00000040
	s_load_dwordx2 s[28:29], s[0:1], 0x50                      // 000000002E30: C0060700 00000050
	s_load_dwordx2 s[32:33], s[0:1], 0x60                      // 000000002E38: C0060800 00000060
	s_load_dwordx2 s[16:17], s[0:1], 0x70                      // 000000002E40: C0060400 00000070
	s_load_dwordx2 s[36:37], s[0:1], 0x80                      // 000000002E48: C0060900 00000080
	s_load_dwordx2 s[44:45], s[0:1], 0x90                      // 000000002E50: C0060B00 00000090
	s_load_dwordx2 s[40:41], s[0:1], 0xa0                      // 000000002E58: C0060A00 000000A0
	s_load_dwordx2 s[46:47], s[0:1], 0xb0                      // 000000002E60: C0060B80 000000B0
	s_load_dword s64, s[0:1], 0xc0                             // 000000002E68: C0021000 000000C0
	s_load_dword s65, s[0:1], 0xd0                             // 000000002E70: C0021040 000000D0
	s_load_dword s66, s[0:1], 0xe0                             // 000000002E78: C0021080 000000E0
	s_load_dword s67, s[0:1], 0xf0                             // 000000002E80: C00210C0 000000F0
	s_load_dword s68, s[0:1], 0x100                            // 000000002E88: C0021100 00000100
	s_load_dword s69, s[0:1], 0x110                            // 000000002E90: C0021140 00000110
	s_load_dword s70, s[0:1], 0x120                            // 000000002E98: C0021180 00000120
	s_load_dword s71, s[0:1], 0x130                            // 000000002EA0: C00211C0 00000130
	s_load_dword s72, s[0:1], 0x140                            // 000000002EA8: C0021200 00000140
	s_load_dword s73, s[0:1], 0x150                            // 000000002EB0: C0021240 00000150
	s_load_dword s74, s[0:1], 0x160                            // 000000002EB8: C0021280 00000160
	s_load_dword s75, s[0:1], 0x170                            // 000000002EC0: C00212C0 00000170
	s_load_dword s76, s[0:1], 0x180                            // 000000002EC8: C0021300 00000180
	v_lshrrev_b32_e32 v1, 10, v0                               // 000000002ED0: 2002008A
	v_lshrrev_b32_e32 v2, 10, v1                               // 000000002ED4: 2004028A
	v_and_b32_e32 v2, 0x3ff, v2                                // 000000002ED8: 260404FF 000003FF
	v_and_b32_e32 v1, 0x3ff, v1                                // 000000002EE0: 260202FF 000003FF
	v_and_b32_e32 v0, 0x3ff, v0                                // 000000002EE8: 260000FF 000003FF
	v_lshrrev_b32_e32 v3, 6, v0                                // 000000002EF0: 20060086
	v_and_b32_e32 v0, 63, v0                                   // 000000002EF4: 260000BF
	s_mov_b32 s2, s2                                           // 000000002EF8: BE820002
	s_mov_b32 s3, s3                                           // 000000002EFC: BE830003
	s_mov_b32 s4, s4                                           // 000000002F00: BE840004
	v_readfirstlane_b32 s7, v3                                 // 000000002F04: 7E0E0503
	s_waitcnt lgkmcnt(0)                                       // 000000002F08: BF8CC07F
	s_and_b32 s51, s51, 0xffff                                 // 000000002F0C: 8633FF33 0000FFFF
	s_load_dword s50, s[50:51], 0x0                            // 000000002F14: C0020C99 00000000
	s_and_b32 s45, s45, 0xffff                                 // 000000002F1C: 862DFF2D 0000FFFF
	s_and_b32 s47, s47, 0xffff                                 // 000000002F24: 862FFF2F 0000FFFF
	s_and_b32 s9, s9, 0xffff                                   // 000000002F2C: 8609FF09 0000FFFF
	s_mul_i32 s60, s66, s68                                    // 000000002F34: 923C4442
	s_mov_b32 s22, s60                                         // 000000002F38: BE96003C
	s_mov_b32 s26, -16                                         // 000000002F3C: BE9A00D0
	s_mov_b32 s14, -16                                         // 000000002F40: BE8E00D0
	s_mov_b32 s42, -16                                         // 000000002F44: BEAA00D0
	s_mov_b32 s30, -16                                         // 000000002F48: BE9E00D0
	s_mov_b32 s34, -16                                         // 000000002F4C: BEA200D0
	s_mov_b32 s38, -16                                         // 000000002F50: BEA600D0
	s_mov_b32 s18, -16                                         // 000000002F54: BE9200D0
	s_mul_i32 s60, s66, s71                                    // 000000002F58: 923C4742
	s_mov_b32 s10, s60                                         // 000000002F5C: BE8A003C
	s_mov_b32 s23, 0x20000                                     // 000000002F60: BE9700FF 00020000
	s_mov_b32 s27, 0x20000                                     // 000000002F68: BE9B00FF 00020000
	s_mov_b32 s15, 0x20000                                     // 000000002F70: BE8F00FF 00020000
	s_mov_b32 s43, 0x20000                                     // 000000002F78: BEAB00FF 00020000
	s_mov_b32 s31, 0x20000                                     // 000000002F80: BE9F00FF 00020000
	s_mov_b32 s35, 0x20000                                     // 000000002F88: BEA300FF 00020000
	s_mov_b32 s39, 0x20000                                     // 000000002F90: BEA700FF 00020000
	s_mov_b32 s19, 0x20000                                     // 000000002F98: BE9300FF 00020000
	s_mov_b32 s11, 0x20000                                     // 000000002FA0: BE8B00FF 00020000
	s_and_b32 s21, s21, 0xffff                                 // 000000002FA8: 8615FF15 0000FFFF
	s_and_b32 s25, s25, 0xffff                                 // 000000002FB0: 8619FF19 0000FFFF
	s_and_b32 s13, s13, 0xffff                                 // 000000002FB8: 860DFF0D 0000FFFF
	s_and_b32 s41, s41, 0xffff                                 // 000000002FC0: 8629FF29 0000FFFF
	s_and_b32 s29, s29, 0xffff                                 // 000000002FC8: 861DFF1D 0000FFFF
	s_and_b32 s33, s33, 0xffff                                 // 000000002FD0: 8621FF21 0000FFFF
	s_and_b32 s37, s37, 0xffff                                 // 000000002FD8: 8625FF25 0000FFFF
	s_and_b32 s17, s17, 0xffff                                 // 000000002FE0: 8611FF11 0000FFFF
	s_or_b32 s21, s21, 0x40000                                 // 000000002FE8: 8715FF15 00040000
	s_or_b32 s25, s25, 0x40000                                 // 000000002FF0: 8719FF19 00040000
	s_or_b32 s13, s13, 0x40000                                 // 000000002FF8: 870DFF0D 00040000
	s_or_b32 s41, s41, 0x40000                                 // 000000003000: 8729FF29 00040000
	s_or_b32 s29, s29, 0x40000                                 // 000000003008: 871DFF1D 00040000
	s_or_b32 s33, s33, 0x40000                                 // 000000003010: 8721FF21 00040000
	s_or_b32 s37, s37, 0x40000                                 // 000000003018: 8725FF25 00040000
	s_or_b32 s17, s17, 0x40000                                 // 000000003020: 8711FF11 00040000
	v_accvgpr_write_b32 a63, 0                                 // 000000003028: D3D9403F 18000080
	v_mov_b32_e32 v171, 0                                      // 000000003030: 7F560280
	s_waitcnt lgkmcnt(0)                                       // 000000003034: BF8CC07F
	s_mul_i32 s60, s3, 32                                      // 000000003038: 923CA003
	s_cmp_lt_i32 s60, s50                                      // 00000000303C: BF04323C
	s_cbranch_scc0 label_127A                                  // 000000003040: BF8411E9
	s_mov_b32 s80, 0                                           // 000000003044: BED00080
	s_mov_b32 s81, s64                                         // 000000003048: BED10040
	s_mul_i32 s60, s3, 4                                       // 00000000304C: 923C8403
	s_add_u32 s46, s60, s46                                    // 000000003050: 802E2E3C
	s_addc_u32 s47, 0, s47                                     // 000000003054: 822F2F80
	s_load_dword s5, s[46:47], 0x0                             // 000000003058: C0020157 00000000
	s_mul_i32 s60, s3, 32                                      // 000000003060: 923CA003
	s_lshr_b32 s61, s7, 1                                      // 000000003064: 8F3D8107
	s_mul_i32 s61, s61, 8                                      // 000000003068: 923D883D
	s_add_u32 s60, s61, s60                                    // 00000000306C: 803C3C3D
	s_and_b32 s61, s7, 1                                       // 000000003070: 863D8107
	s_mul_i32 s61, s61, 2                                      // 000000003074: 923D823D
	s_add_u32 s60, s61, s60                                    // 000000003078: 803C3C3D
	s_mul_i32 s60, 4, s60                                      // 00000000307C: 923C3C84
	s_add_u32 s44, s60, s44                                    // 000000003080: 802C2C3C
	s_addc_u32 s45, 0, s45                                     // 000000003084: 822D2D80
	s_load_dword s82, s[44:45], 0x0                            // 000000003088: C0021496 00000000
	s_load_dword s83, s[44:45], 0x4                            // 000000003090: C00214D6 00000004
	s_load_dword s84, s[44:45], 0x10                           // 000000003098: C0021516 00000010
	s_load_dword s85, s[44:45], 0x14                           // 0000000030A0: C0021556 00000014
	s_load_dword s86, s[44:45], 0x40                           // 0000000030A8: C0021596 00000040
	s_load_dword s87, s[44:45], 0x44                           // 0000000030B0: C00215D6 00000044
	s_load_dword s88, s[44:45], 0x50                           // 0000000030B8: C0021616 00000050
	s_load_dword s89, s[44:45], 0x54                           // 0000000030C0: C0021656 00000054
	s_waitcnt lgkmcnt(0)                                       // 0000000030C8: BF8CC07F
	s_and_b32 s82, s82, 0xffffff                               // 0000000030CC: 8652FF52 00FFFFFF
	s_mul_i32 s62, s82, s68                                    // 0000000030D4: 923E4452
	s_lshl_b32 s60, 0xff, 0                                    // 0000000030D8: 8E3C80FF 000000FF
	s_mov_b32 s61, 0                                           // 0000000030E0: BEBD0080
	s_mov_b64 exec, s[60:61]                                   // 0000000030E4: BEFE013C
	v_mov_b32_e32 v35, s62                                     // 0000000030E8: 7E46023E
	s_and_b32 s83, s83, 0xffffff                               // 0000000030EC: 8653FF53 00FFFFFF
	s_mul_i32 s62, s83, s68                                    // 0000000030F4: 923E4453
	s_lshl_b32 s60, 0xff, 8                                    // 0000000030F8: 8E3C88FF 000000FF
	s_mov_b64 exec, s[60:61]                                   // 000000003100: BEFE013C
	v_mov_b32_e32 v35, s62                                     // 000000003104: 7E46023E
	s_and_b32 s84, s84, 0xffffff                               // 000000003108: 8654FF54 00FFFFFF
	s_mul_i32 s62, s84, s68                                    // 000000003110: 923E4454
	s_lshl_b32 s60, 0xff, 16                                   // 000000003114: 8E3C90FF 000000FF
	s_mov_b64 exec, s[60:61]                                   // 00000000311C: BEFE013C
	v_mov_b32_e32 v35, s62                                     // 000000003120: 7E46023E
	s_and_b32 s85, s85, 0xffffff                               // 000000003124: 8655FF55 00FFFFFF
	s_mul_i32 s62, s85, s68                                    // 00000000312C: 923E4455
	s_lshl_b32 s60, 0xff, 24                                   // 000000003130: 8E3C98FF 000000FF
	s_mov_b64 exec, s[60:61]                                   // 000000003138: BEFE013C
	v_mov_b32_e32 v35, s62                                     // 00000000313C: 7E46023E
	s_and_b32 s86, s86, 0xffffff                               // 000000003140: 8656FF56 00FFFFFF
	s_mul_i32 s62, s86, s68                                    // 000000003148: 923E4456
	s_lshl_b32 s61, 0xff, 0                                    // 00000000314C: 8E3D80FF 000000FF
	s_mov_b32 s60, 0                                           // 000000003154: BEBC0080
	s_mov_b64 exec, s[60:61]                                   // 000000003158: BEFE013C
	v_mov_b32_e32 v35, s62                                     // 00000000315C: 7E46023E
	s_and_b32 s87, s87, 0xffffff                               // 000000003160: 8657FF57 00FFFFFF
	s_mul_i32 s62, s87, s68                                    // 000000003168: 923E4457
	s_lshl_b32 s61, 0xff, 8                                    // 00000000316C: 8E3D88FF 000000FF
	s_mov_b64 exec, s[60:61]                                   // 000000003174: BEFE013C
	v_mov_b32_e32 v35, s62                                     // 000000003178: 7E46023E
	s_and_b32 s88, s88, 0xffffff                               // 00000000317C: 8658FF58 00FFFFFF
	s_mul_i32 s62, s88, s68                                    // 000000003184: 923E4458
	s_lshl_b32 s61, 0xff, 16                                   // 000000003188: 8E3D90FF 000000FF
	s_mov_b64 exec, s[60:61]                                   // 000000003190: BEFE013C
	v_mov_b32_e32 v35, s62                                     // 000000003194: 7E46023E
	s_and_b32 s89, s89, 0xffffff                               // 000000003198: 8659FF59 00FFFFFF
	s_mul_i32 s62, s89, s68                                    // 0000000031A0: 923E4459
	s_lshl_b32 s61, 0xff, 24                                   // 0000000031A4: 8E3D98FF 000000FF
	s_mov_b64 exec, s[60:61]                                   // 0000000031AC: BEFE013C
	v_mov_b32_e32 v35, s62                                     // 0000000031B0: 7E46023E
	s_mov_b32 s60, -1                                          // 0000000031B4: BEBC00C1
	s_mov_b32 s61, -1                                          // 0000000031B8: BEBD00C1
	s_mov_b64 exec, s[60:61]                                   // 0000000031BC: BEFE013C
	v_and_b32_e64 v2, v0, 7                                    // 0000000031C0: D1130002 00010F00
	v_lshlrev_b32_e32 v2, 4, v2                                // 0000000031C8: 24040484
	v_add_u32_e32 v35, v35, v2                                 // 0000000031CC: 68460523
	s_mov_b32 s62, 0x80                                        // 0000000031D0: BEBE00FF 00000080
	v_add_u32_e64 v36, v35, s62                                // 0000000031D8: D1340024 00007D23
	v_lshlrev_b32_e32 v2, 2, v0                                // 0000000031E0: 24040082
	s_mul_i32 s60, s82, s71                                    // 0000000031E4: 923C4752
	v_add_u32_e64 v92, v2, s60                                 // 0000000031E8: D134005C 00007902
	v_mov_b32_e32 v93, 0                                       // 0000000031F0: 7EBA0280
	s_mul_i32 s60, s83, s71                                    // 0000000031F4: 923C4753
	v_add_u32_e64 v94, v2, s60                                 // 0000000031F8: D134005E 00007902
	v_mov_b32_e32 v95, 0                                       // 000000003200: 7EBE0280
	s_mul_i32 s60, s84, s71                                    // 000000003204: 923C4754
	v_add_u32_e64 v96, v2, s60                                 // 000000003208: D1340060 00007902
	v_mov_b32_e32 v97, 0                                       // 000000003210: 7EC20280
	s_mul_i32 s60, s85, s71                                    // 000000003214: 923C4755
	v_add_u32_e64 v98, v2, s60                                 // 000000003218: D1340062 00007902
	v_mov_b32_e32 v99, 0                                       // 000000003220: 7EC60280
	s_mul_i32 s60, s86, s71                                    // 000000003224: 923C4756
	v_add_u32_e64 v100, v2, s60                                // 000000003228: D1340064 00007902
	v_mov_b32_e32 v101, 0                                      // 000000003230: 7ECA0280
	s_mul_i32 s60, s87, s71                                    // 000000003234: 923C4757
	v_add_u32_e64 v102, v2, s60                                // 000000003238: D1340066 00007902
	v_mov_b32_e32 v103, 0                                      // 000000003240: 7ECE0280
	s_mul_i32 s60, s88, s71                                    // 000000003244: 923C4758
	v_add_u32_e64 v104, v2, s60                                // 000000003248: D1340068 00007902
	v_mov_b32_e32 v105, 0                                      // 000000003250: 7ED20280
	s_mul_i32 s60, s89, s71                                    // 000000003254: 923C4759
	v_add_u32_e64 v106, v2, s60                                // 000000003258: D134006A 00007902
	v_mov_b32_e32 v107, 0                                      // 000000003260: 7ED60280
	s_mul_i32 s60, s7, 0x420                                   // 000000003264: 923CFF07 00000420
	s_add_u32 s50, 0, s60                                      // 00000000326C: 80323C80
	s_add_u32 s51, 0x1080, s50                                 // 000000003270: 803332FF 00001080
	v_and_b32_e32 v2, 15, v0                                   // 000000003278: 2604008F
	v_lshrrev_b32_e32 v3, 3, v2                                // 00000000327C: 20060483
	v_mul_lo_u32 v3, 2, v3                                     // 000000003280: D2850003 00020682
	v_and_b32_e32 v2, 3, v0                                    // 000000003288: 26040083
	v_lshrrev_b32_e32 v4, 1, v2                                // 00000000328C: 20080481
	v_add_u32_e32 v2, v3, v4                                   // 000000003290: 68040903
	v_mul_i32_i24_e32 v6, 0x420, v2                            // 000000003294: 0C0C04FF 00000420
	v_and_b32_e32 v2, 7, v0                                    // 00000000329C: 26040087
	v_lshrrev_b32_e32 v3, 2, v2                                // 0000000032A0: 20060482
	v_mul_i32_i24_e32 v3, 0x100, v3                            // 0000000032A4: 0C0606FF 00000100
	v_and_b32_e32 v2, 1, v0                                    // 0000000032AC: 26040081
	v_mul_i32_i24_e32 v4, 0x80, v2                             // 0000000032B0: 0C0804FF 00000080
	v_add_u32_e32 v6, v3, v6                                   // 0000000032B8: 680C0D03
	v_add_u32_e32 v6, v4, v6                                   // 0000000032BC: 680C0D04
	v_lshrrev_b32_e32 v2, 4, v0                                // 0000000032C0: 20040084
	v_mul_lo_u32 v2, 16, v2                                    // 0000000032C4: D2850002 00020490
	v_add_u32_e32 v6, v2, v6                                   // 0000000032CC: 680C0D02
	s_mul_i32 s60, s2, 0x100                                   // 0000000032D0: 923CFF02 00000100
	s_mul_i32 s60, s60, s69                                    // 0000000032D8: 923C453C
	s_mul_i32 s61, s5, s72                                     // 0000000032DC: 923D4805
	s_add_u32 s60, s61, s60                                    // 0000000032E0: 803C3C3D
	s_add_u32 s24, s60, s24                                    // 0000000032E4: 8018183C
	s_addc_u32 s25, 0, s25                                     // 0000000032E8: 82191980
	s_mul_i32 s60, s7, 32                                      // 0000000032EC: 923CA007
	s_mul_i32 s60, s60, s69                                    // 0000000032F0: 923C453C
	v_lshlrev_b32_e32 v36, 4, v0                               // 0000000032F4: 24480084
	v_add_u32_e32 v36, s60, v36                                // 0000000032F8: 6848483C
	s_mul_i32 s60, 16, s69                                     // 0000000032FC: 923C4590
	v_add_u32_e32 v37, s60, v36                                // 000000003300: 684A483C
	s_mul_i32 s60, 0x80, s69                                   // 000000003304: 923C45FF 00000080
	v_add_u32_e32 v38, s60, v36                                // 00000000330C: 684C483C
	v_add_u32_e32 v39, s60, v37                                // 000000003310: 684E4A3C
	s_mov_b32 s92, s24                                         // 000000003314: BEDC0018
	s_mov_b32 s93, s25                                         // 000000003318: BEDD0019
	s_mov_b32 s94, s26                                         // 00000000331C: BEDE001A
	s_mov_b32 s95, s27                                         // 000000003320: BEDF001B
	s_mul_i32 s60, s69, s65                                    // 000000003324: 923C4145
	s_add_u32 s92, s60, s92                                    // 000000003328: 805C5C3C
	s_addc_u32 s93, 0, s93                                     // 00000000332C: 825D5D80
	s_mul_i32 s60, s2, 0x800                                   // 000000003330: 923CFF02 00000800
	s_mul_i32 s61, s5, s73                                     // 000000003338: 923D4905
	s_add_u32 s60, s61, s60                                    // 00000000333C: 803C3C3D
	s_add_u32 s12, s60, s12                                    // 000000003340: 800C0C3C
	s_addc_u32 s13, 0, s13                                     // 000000003344: 820D0D80
	s_mul_i32 s60, s7, 32                                      // 000000003348: 923CA007
	s_mul_i32 s60, s60, s70                                    // 00000000334C: 923C463C
	v_lshlrev_b32_e32 v40, 4, v0                               // 000000003350: 24500084
	v_add_u32_e32 v40, s60, v40                                // 000000003354: 6850503C
	s_mul_i32 s60, 16, s70                                     // 000000003358: 923C4690
	v_add_u32_e32 v41, s60, v40                                // 00000000335C: 6852503C
	s_mul_i32 s60, 0x80, s70                                   // 000000003360: 923C46FF 00000080
	v_add_u32_e32 v42, s60, v40                                // 000000003368: 6854503C
	v_add_u32_e32 v43, s60, v41                                // 00000000336C: 6856523C
	s_mul_i32 s56, s70, 0x100                                  // 000000003370: 9238FF46 00000100
	s_mul_i32 s60, s3, 32                                      // 000000003378: 923CA003
	s_mul_i32 s60, 4, s60                                      // 00000000337C: 923C3C84
	s_add_u32 s40, s60, s40                                    // 000000003380: 8028283C
	s_addc_u32 s41, 0, s41                                     // 000000003384: 82292980
	v_and_b32_e32 v2, 15, v0                                   // 000000003388: 2604008F
	v_lshlrev_b32_e32 v13, 2, v2                               // 00000000338C: 241A0482
	v_add_u32_e32 v14, 64, v13                                 // 000000003390: 681C1AC0
	s_mov_b32 s4, 0x100                                        // 000000003394: BE8400FF 00000100
	v_lshlrev_b32_e32 v15, 2, v0                               // 00000000339C: 241E0082
	s_lshr_b32 s61, s64, 5                                     // 0000000033A0: 8F3D8540
	s_mul_i32 s60, s7, 32                                      // 0000000033A4: 923CA007
	s_mul_i32 s60, s61, s60                                    // 0000000033A8: 923C3C3D
	v_add_u32_e64 v15, v15, s60                                // 0000000033AC: D134000F 0000790F
	s_mul_i32 s60, s65, s61                                    // 0000000033B4: 923C3D41
	v_add_u32_e64 v17, v15, s60                                // 0000000033B8: D1340011 0000790F
	s_mul_i32 s60, s61, 0x80                                   // 0000000033C0: 923CFF3D 00000080
	v_add_u32_e64 v16, v15, s60                                // 0000000033C8: D1340010 0000790F
	v_add_u32_e64 v18, v17, s60                                // 0000000033D0: D1340012 00007911
	s_mul_i32 s60, s2, 0x100                                   // 0000000033D8: 923CFF02 00000100
	s_mul_i32 s60, s60, s61                                    // 0000000033E0: 923C3D3C
	s_mul_i32 s61, s5, s74                                     // 0000000033E4: 923D4A05
	s_add_u32 s61, s61, s60                                    // 0000000033E8: 803D3C3D
	s_add_u32 s32, s61, s32                                    // 0000000033EC: 8020203D
	s_addc_u32 s33, 0, s33                                     // 0000000033F0: 82212180
	v_lshlrev_b32_e32 v10, 2, v0                               // 0000000033F4: 24140082
	s_lshr_b32 s60, s65, 5                                     // 0000000033F8: 8F3C8541
	s_mul_i32 s61, s7, 32                                      // 0000000033FC: 923DA007
	s_mul_i32 s61, s61, s60                                    // 000000003400: 923D3C3D
	v_add_u32_e32 v10, s61, v10                                // 000000003404: 6814143D
	s_mul_i32 s60, s60, 0x80                                   // 000000003408: 923CFF3C 00000080
	v_add_u32_e64 v11, v10, s60                                // 000000003410: D134000B 0000790A
	s_mul_i32 s60, s2, 0x100                                   // 000000003418: 923CFF02 00000100
	s_mul_i32 s61, s5, s75                                     // 000000003420: 923D4B05
	s_add_u32 s60, s60, s61                                    // 000000003424: 803C3D3C
	s_add_u32 s16, s60, s16                                    // 000000003428: 8010103C
	s_addc_u32 s17, 0, s17                                     // 00000000342C: 82111180
	s_mov_b32 s57, 0x80                                        // 000000003430: BEB900FF 00000080
	s_mov_b32 s58, 0x800                                       // 000000003438: BEBA00FF 00000800
	s_lshr_b32 s60, s65, 5                                     // 000000003440: 8F3C8541
	s_mul_i32 s79, s60, 0x100                                  // 000000003444: 924FFF3C 00000100
	s_mov_b32 s59, 0                                           // 00000000344C: BEBB0080
	s_mov_b32 s90, s58                                         // 000000003450: BEDA003A
	s_mov_b32 s52, 0x7060302                                   // 000000003454: BEB400FF 07060302
	s_mov_b32 s53, 0x400                                       // 00000000345C: BEB500FF 00000400
	s_mov_b32 s54, 0x40100                                     // 000000003464: BEB600FF 00040100
	s_mov_b32 s55, 0x4020100                                   // 00000000346C: BEB700FF 04020100
	s_mov_b32 s6, 0x3fb8aa3b                                   // 000000003474: BE8600FF 3FB8AA3B
	s_mov_b32 s77, 0xbd92220c                                  // 00000000347C: BECD00FF BD92220C
	s_mov_b32 m0, s50                                          // 000000003484: BEFC0032
	s_mul_i32 s60, s3, 32                                      // 000000003488: 923CA003
	s_mul_i32 s60, s64, s60                                    // 00000000348C: 923C3C40
	s_lshr_b32 s60, s60, 5                                     // 000000003490: 8F3C853C
	s_add_u32 s28, s60, s28                                    // 000000003494: 801C1C3C
	s_addc_u32 s29, 0, s29                                     // 000000003498: 821D1D80
	v_lshlrev_b32_e32 v12, 2, v0                               // 00000000349C: 24180082
	s_mov_b32 s3, 0x100                                        // 0000000034A0: BE8300FF 00000100
	buffer_load_dword v21, v15, s[32:35], 0 offen              // 0000000034A8: E0501000 8008150F
	buffer_load_dword v22, v16, s[32:35], 0 offen              // 0000000034B0: E0501000 80081610
	buffer_load_dword v29, v13, s[40:43], 0 offen              // 0000000034B8: E0501000 800A1D0D
	buffer_load_dword v30, v14, s[40:43], 0 offen              // 0000000034C0: E0501000 800A1E0E
	buffer_load_dwordx4 v35, s[20:23], 0 offen lds             // 0000000034C8: E05D1000 80050023
	s_add_u32 m0, 0, s51                                       // 0000000034D0: 807C3380
	buffer_load_dword v19, v12, s[28:31], 0 offen              // 0000000034D4: E0501000 8007130C
	s_add_u32 s20, s57, s20                                    // 0000000034DC: 80141439
	s_addc_u32 s21, 0, s21                                     // 0000000034E0: 82151580
	s_add_u32 s28, s3, s28                                     // 0000000034E4: 801C1C03
	s_addc_u32 s29, 0, s29                                     // 0000000034E8: 821D1D80
	buffer_load_dwordx4 a[0:3], v36, s[24:27], 0 offen         // 0000000034EC: E05C1000 80860024
	buffer_load_dwordx4 a[4:7], v37, s[24:27], 0 offen         // 0000000034F4: E05C1000 80860425
	buffer_load_dwordx4 a[8:11], v38, s[24:27], 0 offen        // 0000000034FC: E05C1000 80860826
	buffer_load_dwordx4 a[12:15], v39, s[24:27], 0 offen       // 000000003504: E05C1000 80860C27
	buffer_load_dwordx4 a[16:19], v36, s[24:27], 0 offen offset:1024// 00000000350C: E05C1400 80861024
	buffer_load_dwordx4 a[20:23], v37, s[24:27], 0 offen offset:1024// 000000003514: E05C1400 80861425
	buffer_load_dwordx4 a[24:27], v38, s[24:27], 0 offen offset:1024// 00000000351C: E05C1400 80861826
	buffer_load_dwordx4 a[28:31], v39, s[24:27], 0 offen offset:1024// 000000003524: E05C1400 80861C27
	s_add_u32 s24, s58, s24                                    // 00000000352C: 8018183A
	s_addc_u32 s25, 0, s25                                     // 000000003530: 82191980
	v_mov_b32_e32 v44, 0                                       // 000000003534: 7E580280
	v_mov_b32_e32 v76, 0                                       // 000000003538: 7E980280
	v_mov_b32_e32 v45, 0                                       // 00000000353C: 7E5A0280
	v_mov_b32_e32 v77, 0                                       // 000000003540: 7E9A0280
	v_mov_b32_e32 v46, 0                                       // 000000003544: 7E5C0280
	v_mov_b32_e32 v78, 0                                       // 000000003548: 7E9C0280
	v_mov_b32_e32 v47, 0                                       // 00000000354C: 7E5E0280
	v_mov_b32_e32 v79, 0                                       // 000000003550: 7E9E0280
	v_mov_b32_e32 v48, 0                                       // 000000003554: 7E600280
	v_mov_b32_e32 v80, 0                                       // 000000003558: 7EA00280
	v_mov_b32_e32 v49, 0                                       // 00000000355C: 7E620280
	v_mov_b32_e32 v81, 0                                       // 000000003560: 7EA20280
	v_mov_b32_e32 v50, 0                                       // 000000003564: 7E640280
	v_mov_b32_e32 v82, 0                                       // 000000003568: 7EA40280
	v_mov_b32_e32 v51, 0                                       // 00000000356C: 7E660280
	v_mov_b32_e32 v83, 0                                       // 000000003570: 7EA60280
	v_mov_b32_e32 v52, 0                                       // 000000003574: 7E680280
	v_mov_b32_e32 v84, 0                                       // 000000003578: 7EA80280
	v_mov_b32_e32 v53, 0                                       // 00000000357C: 7E6A0280
	v_mov_b32_e32 v85, 0                                       // 000000003580: 7EAA0280
	v_mov_b32_e32 v54, 0                                       // 000000003584: 7E6C0280
	v_mov_b32_e32 v86, 0                                       // 000000003588: 7EAC0280
	v_mov_b32_e32 v55, 0                                       // 00000000358C: 7E6E0280
	v_mov_b32_e32 v87, 0                                       // 000000003590: 7EAE0280
	v_mov_b32_e32 v56, 0                                       // 000000003594: 7E700280
	v_mov_b32_e32 v88, 0                                       // 000000003598: 7EB00280
	v_mov_b32_e32 v57, 0                                       // 00000000359C: 7E720280
	v_mov_b32_e32 v89, 0                                       // 0000000035A0: 7EB20280
	v_mov_b32_e32 v58, 0                                       // 0000000035A4: 7E740280
	v_mov_b32_e32 v90, 0                                       // 0000000035A8: 7EB40280
	v_mov_b32_e32 v59, 0                                       // 0000000035AC: 7E760280
	v_mov_b32_e32 v91, 0                                       // 0000000035B0: 7EB60280
	v_mov_b32_e32 v60, 0                                       // 0000000035B4: 7E780280
	v_mov_b32_e32 v92, 0                                       // 0000000035B8: 7EB80280
	v_mov_b32_e32 v61, 0                                       // 0000000035BC: 7E7A0280
	v_mov_b32_e32 v93, 0                                       // 0000000035C0: 7EBA0280
	v_mov_b32_e32 v62, 0                                       // 0000000035C4: 7E7C0280
	v_mov_b32_e32 v94, 0                                       // 0000000035C8: 7EBC0280
	v_mov_b32_e32 v63, 0                                       // 0000000035CC: 7E7E0280
	v_mov_b32_e32 v95, 0                                       // 0000000035D0: 7EBE0280
	v_mov_b32_e32 v64, 0                                       // 0000000035D4: 7E800280
	v_mov_b32_e32 v96, 0                                       // 0000000035D8: 7EC00280
	v_mov_b32_e32 v65, 0                                       // 0000000035DC: 7E820280
	v_mov_b32_e32 v97, 0                                       // 0000000035E0: 7EC20280
	v_mov_b32_e32 v66, 0                                       // 0000000035E4: 7E840280
	v_mov_b32_e32 v98, 0                                       // 0000000035E8: 7EC40280
	v_mov_b32_e32 v67, 0                                       // 0000000035EC: 7E860280
	v_mov_b32_e32 v99, 0                                       // 0000000035F0: 7EC60280
	v_mov_b32_e32 v68, 0                                       // 0000000035F4: 7E880280
	v_mov_b32_e32 v100, 0                                      // 0000000035F8: 7EC80280
	v_mov_b32_e32 v69, 0                                       // 0000000035FC: 7E8A0280
	v_mov_b32_e32 v101, 0                                      // 000000003600: 7ECA0280
	v_mov_b32_e32 v70, 0                                       // 000000003604: 7E8C0280
	v_mov_b32_e32 v102, 0                                      // 000000003608: 7ECC0280
	v_mov_b32_e32 v71, 0                                       // 00000000360C: 7E8E0280
	v_mov_b32_e32 v103, 0                                      // 000000003610: 7ECE0280
	v_mov_b32_e32 v72, 0                                       // 000000003614: 7E900280
	v_mov_b32_e32 v104, 0                                      // 000000003618: 7ED00280
	v_mov_b32_e32 v73, 0                                       // 00000000361C: 7E920280
	v_mov_b32_e32 v105, 0                                      // 000000003620: 7ED20280
	v_mov_b32_e32 v74, 0                                       // 000000003624: 7E940280
	v_mov_b32_e32 v106, 0                                      // 000000003628: 7ED40280
	v_mov_b32_e32 v75, 0                                       // 00000000362C: 7E960280
	v_mov_b32_e32 v107, 0                                      // 000000003630: 7ED60280
	v_lshrrev_b32_e32 v2, 4, v0                                // 000000003634: 20040084
	v_mul_lo_u32 v8, 34, v2                                    // 000000003638: D2850008 000204A2
	v_and_b32_e32 v2, 15, v0                                   // 000000003640: 2604008F
	v_mul_lo_u32 v3, 2, v2                                     // 000000003644: D2850003 00020482
	v_add_u32_e32 v8, v3, v8                                   // 00000000364C: 68101103
	s_mul_i32 s60, s7, 0x110                                   // 000000003650: 923CFF07 00000110
	v_add_u32_e32 v8, s60, v8                                  // 000000003658: 6810103C
	v_lshlrev_b32_e32 v8, 2, v8                                // 00000000365C: 24101082
	v_lshrrev_b32_e32 v2, 1, v0                                // 000000003660: 20040081
	v_mul_lo_u32 v9, 34, v2                                    // 000000003664: D2850009 000204A2
	v_and_b32_e32 v3, 1, v0                                    // 00000000366C: 26060081
	v_add_u32_e32 v9, v3, v9                                   // 000000003670: 68121303
	s_lshr_b32 s60, s7, 1                                      // 000000003674: 8F3C8107
	s_mul_i32 s60, s60, 8                                      // 000000003678: 923C883C
	s_and_b32 s61, s7, 1                                       // 00000000367C: 863D8107
	s_mul_i32 s61, s61, 2                                      // 000000003680: 923D823D
	s_add_u32 s60, s61, s60                                    // 000000003684: 803C3C3D
	s_mul_i32 s60, 2, s60                                      // 000000003688: 923C3C82
	v_add_u32_e32 v9, s60, v9                                  // 00000000368C: 6812123C
	v_lshlrev_b32_e32 v9, 2, v9                                // 000000003690: 24121282
	s_waitcnt vmcnt(8)                                         // 000000003694: BF8C0F78
	s_barrier                                                  // 000000003698: BF8A0000
	ds_read_b128 v[108:111], v6                                // 00000000369C: D9FE0000 6C000006
	ds_read_b128 v[112:115], v6 offset:64                      // 0000000036A4: D9FE0040 70000006
	ds_read_b128 v[116:119], v6 offset:512                     // 0000000036AC: D9FE0200 74000006
	ds_read_b128 v[120:123], v6 offset:576                     // 0000000036B4: D9FE0240 78000006
	s_cmp_lt_i32 s7, 2                                         // 0000000036BC: BF048207
	s_cbranch_scc0 label_09AE                                  // 0000000036C0: BF84077D

00000000000036c4 <label_0231>:
	s_waitcnt vmcnt(6) lgkmcnt(0)                              // 0000000036C4: BF8C0076
	s_barrier                                                  // 0000000036C8: BF8A0000
	v_mfma_scale_f32_16x16x128_f8f6f4 v[44:47], a[0:3], v[108:111], v[44:47], v21, v19 op_sel_hi:[0,0,0] cbsz:4 blgp:4// 0000000036CC: D3AC6000 00022715 D3AD0C2C 8CB2D900
	v_mfma_scale_f32_16x16x128_f8f6f4 v[60:63], a[0:3], v[116:119], v[60:63], v21, v19 op_sel_hi:[0,0,0] cbsz:4 blgp:4// 0000000036DC: D3AC7000 00022715 D3AD0C3C 8CF2E900
	buffer_load_dwordx4 a[32:35], v36, s[92:95], 0 offen       // 0000000036EC: E05C1000 80972024
	buffer_load_dwordx4 v35, s[20:23], 0 offen lds             // 0000000036F4: E05D1000 80050023
	s_add_u32 m0, 0, s50                                       // 0000000036FC: 807C3280
	v_mfma_scale_f32_16x16x128_f8f6f4 v[48:51], a[4:7], v[108:111], v[48:51], v21, v19 op_sel_hi:[0,0,0] cbsz:4 blgp:4// 000000003700: D3AC6800 00022715 D3AD0C30 8CC2D904
	v_mfma_scale_f32_16x16x128_f8f6f4 v[64:67], a[4:7], v[116:119], v[64:67], v21, v19 op_sel_hi:[0,0,0] cbsz:4 blgp:4// 000000003710: D3AC7800 00022715 D3AD0C40 8D02E904
	buffer_load_dwordx4 a[36:39], v37, s[92:95], 0 offen       // 000000003720: E05C1000 80972425
	buffer_load_dword v20, v12, s[28:31], 0 offen              // 000000003728: E0501000 8007140C
	buffer_load_dword v25, v17, s[32:35], 0 offen              // 000000003730: E0501000 80081911
	buffer_load_dword v26, v18, s[32:35], 0 offen              // 000000003738: E0501000 80081A12
	s_waitcnt vmcnt(10)                                        // 000000003740: BF8C0F7A
	v_mfma_scale_f32_16x16x128_f8f6f4 v[52:55], a[8:11], v[108:111], v[52:55], v22, v19 op_sel_hi:[0,0,0] cbsz:4 blgp:4// 000000003744: D3AC6000 00022716 D3AD0C34 8CD2D908
	v_mfma_scale_f32_16x16x128_f8f6f4 v[68:71], a[8:11], v[116:119], v[68:71], v22, v19 op_sel_hi:[0,0,0] cbsz:4 blgp:4// 000000003754: D3AC7000 00022716 D3AD0C44 8D12E908
	buffer_load_dwordx4 a[40:43], v38, s[92:95], 0 offen       // 000000003764: E05C1000 80972826
	v_mfma_scale_f32_16x16x128_f8f6f4 v[56:59], a[12:15], v[108:111], v[56:59], v22, v19 op_sel_hi:[0,0,0] cbsz:4 blgp:4// 00000000376C: D3AC6800 00022716 D3AD0C38 8CE2D90C
	v_mfma_scale_f32_16x16x128_f8f6f4 v[72:75], a[12:15], v[116:119], v[72:75], v22, v19 op_sel_hi:[0,0,0] cbsz:4 blgp:4// 00000000377C: D3AC7800 00022716 D3AD0C48 8D22E90C
	buffer_load_dwordx4 a[44:47], v39, s[92:95], 0 offen       // 00000000378C: E05C1000 80972C27
	s_nop 0                                                    // 000000003794: BF800000
	s_waitcnt vmcnt(10)                                        // 000000003798: BF8C0F7A
	v_mfma_scale_f32_16x16x128_f8f6f4 v[44:47], a[16:19], v[112:115], v[44:47], v21, v19 op_sel_hi:[0,0,0] cbsz:4 blgp:4// 00000000379C: D3AC6000 18022715 D3AD0C2C 8CB2E110
	v_mfma_scale_f32_16x16x128_f8f6f4 v[60:63], a[16:19], v[120:123], v[60:63], v21, v19 op_sel_hi:[0,0,0] cbsz:4 blgp:4// 0000000037AC: D3AC7000 18022715 D3AD0C3C 8CF2F110
	buffer_load_dwordx4 a[48:51], v36, s[92:95], 0 offen offset:1024// 0000000037BC: E05C1400 80973024
	v_mfma_scale_f32_16x16x128_f8f6f4 v[48:51], a[20:23], v[112:115], v[48:51], v21, v19 op_sel_hi:[0,0,0] cbsz:4 blgp:4// 0000000037C4: D3AC6800 18022715 D3AD0C30 8CC2E114
	v_mfma_scale_f32_16x16x128_f8f6f4 v[64:67], a[20:23], v[120:123], v[64:67], v21, v19 op_sel_hi:[0,0,0] cbsz:4 blgp:4// 0000000037D4: D3AC7800 18022715 D3AD0C40 8D02F114
	buffer_load_dwordx4 a[52:55], v37, s[92:95], 0 offen offset:1024// 0000000037E4: E05C1400 80973425
	s_waitcnt vmcnt(10)                                        // 0000000037EC: BF8C0F7A
	v_mfma_scale_f32_16x16x128_f8f6f4 v[52:55], a[24:27], v[112:115], v[52:55], v22, v19 op_sel_hi:[0,0,0] cbsz:4 blgp:4// 0000000037F0: D3AC6000 18022716 D3AD0C34 8CD2E118
	v_mfma_scale_f32_16x16x128_f8f6f4 v[68:71], a[24:27], v[120:123], v[68:71], v22, v19 op_sel_hi:[0,0,0] cbsz:4 blgp:4// 000000003800: D3AC7000 18022716 D3AD0C44 8D12F118
	buffer_load_dwordx4 a[56:59], v38, s[92:95], 0 offen offset:1024// 000000003810: E05C1400 80973826
	v_mfma_scale_f32_16x16x128_f8f6f4 v[56:59], a[28:31], v[112:115], v[56:59], v22, v19 op_sel_hi:[0,0,0] cbsz:4 blgp:4// 000000003818: D3AC6800 18022716 D3AD0C38 8CE2E11C
	v_mfma_scale_f32_16x16x128_f8f6f4 v[72:75], a[28:31], v[120:123], v[72:75], v22, v19 op_sel_hi:[0,0,0] cbsz:4 blgp:4// 000000003828: D3AC7800 18022716 D3AD0C48 8D22F11C
	buffer_load_dwordx4 a[60:63], v39, s[92:95], 0 offen offset:1024// 000000003838: E05C1400 80973C27
	s_add_u32 s60, 0x100, s80                                  // 000000003840: 803C50FF 00000100
	s_cmp_lt_u32 s60, s81                                      // 000000003848: BF0A513C
	s_cselect_b32 s4, s4, 0                                    // 00000000384C: 85048004
	s_add_u32 s32, s4, s32                                     // 000000003850: 80202004
	s_addc_u32 s33, 0, s33                                     // 000000003854: 82212180
	s_waitcnt vmcnt(6)                                         // 000000003858: BF8C0F76
	s_barrier                                                  // 00000000385C: BF8A0000
	v_mfma_scale_f32_16x16x128_f8f6f4 v[76:79], a[32:35], v[108:111], v[76:79], v25, v19 op_sel_hi:[0,0,0] cbsz:4 blgp:4// 000000003860: D3AC6000 00022719 D3AD0C4C 8D32D920
	v_mfma_scale_f32_16x16x128_f8f6f4 v[92:95], a[32:35], v[116:119], v[92:95], v25, v19 op_sel_hi:[0,0,0] cbsz:4 blgp:4// 000000003870: D3AC7000 00022719 D3AD0C5C 8D72E920
	buffer_load_dwordx4 a[0:3], v36, s[24:27], 0 offen         // 000000003880: E05C1000 80860024
	buffer_load_dword v23, v15, s[32:35], 0 offen              // 000000003888: E0501000 8008170F
	buffer_load_dword v24, v16, s[32:35], 0 offen              // 000000003890: E0501000 80081810
	v_mfma_scale_f32_16x16x128_f8f6f4 v[80:83], a[36:39], v[108:111], v[80:83], v25, v19 op_sel_hi:[0,0,0] cbsz:4 blgp:4// 000000003898: D3AC6800 00022719 D3AD0C50 8D42D924
	v_mfma_scale_f32_16x16x128_f8f6f4 v[96:99], a[36:39], v[116:119], v[96:99], v25, v19 op_sel_hi:[0,0,0] cbsz:4 blgp:4// 0000000038A8: D3AC7800 00022719 D3AD0C60 8D82E924
	buffer_load_dwordx4 a[4:7], v37, s[24:27], 0 offen         // 0000000038B8: E05C1000 80860425
	s_waitcnt vmcnt(8)                                         // 0000000038C0: BF8C0F78
	v_mfma_scale_f32_16x16x128_f8f6f4 v[84:87], a[40:43], v[108:111], v[84:87], v26, v19 op_sel_hi:[0,0,0] cbsz:4 blgp:4// 0000000038C4: D3AC6000 0002271A D3AD0C54 8D52D928
	v_mfma_scale_f32_16x16x128_f8f6f4 v[100:103], a[40:43], v[116:119], v[100:103], v26, v19 op_sel_hi:[0,0,0] cbsz:4 blgp:4// 0000000038D4: D3AC7000 0002271A D3AD0C64 8D92E928
	buffer_load_dwordx4 a[8:11], v38, s[24:27], 0 offen        // 0000000038E4: E05C1000 80860826
	v_mfma_scale_f32_16x16x128_f8f6f4 v[88:91], a[44:47], v[108:111], v[88:91], v26, v19 op_sel_hi:[0,0,0] cbsz:4 blgp:4// 0000000038EC: D3AC6800 0002271A D3AD0C58 8D62D92C
	v_mfma_scale_f32_16x16x128_f8f6f4 v[104:107], a[44:47], v[116:119], v[104:107], v26, v19 op_sel_hi:[0,0,0] cbsz:4 blgp:4// 0000000038FC: D3AC7800 0002271A D3AD0C68 8DA2E92C
	buffer_load_dwordx4 a[12:15], v39, s[24:27], 0 offen       // 00000000390C: E05C1000 80860C27
	s_waitcnt vmcnt(8)                                         // 000000003914: BF8C0F78
	v_mfma_scale_f32_16x16x128_f8f6f4 v[76:79], a[48:51], v[112:115], v[76:79], v25, v19 op_sel_hi:[0,0,0] cbsz:4 blgp:4// 000000003918: D3AC6000 18022719 D3AD0C4C 8D32E130
	ds_read_b128 v[124:127], v6 offset:4224                    // 000000003928: D9FE1080 7C000006
	ds_read_b128 v[128:131], v6 offset:4288                    // 000000003930: D9FE10C0 80000006
	v_mfma_scale_f32_16x16x128_f8f6f4 v[92:95], a[48:51], v[120:123], v[92:95], v25, v19 op_sel_hi:[0,0,0] cbsz:4 blgp:4// 000000003938: D3AC7000 18022719 D3AD0C5C 8D72F130
	buffer_load_dwordx4 a[16:19], v36, s[24:27], 0 offen offset:1024// 000000003948: E05C1400 80861024
	v_mfma_scale_f32_16x16x128_f8f6f4 v[80:83], a[52:55], v[112:115], v[80:83], v25, v19 op_sel_hi:[0,0,0] cbsz:4 blgp:4// 000000003950: D3AC6800 18022719 D3AD0C50 8D42E134
	ds_read_b128 v[132:135], v6 offset:4736                    // 000000003960: D9FE1280 84000006
	ds_read_b128 v[136:139], v6 offset:4800                    // 000000003968: D9FE12C0 88000006
	v_mfma_scale_f32_16x16x128_f8f6f4 v[96:99], a[52:55], v[120:123], v[96:99], v25, v19 op_sel_hi:[0,0,0] cbsz:4 blgp:4// 000000003970: D3AC7800 18022719 D3AD0C60 8D82F134
	buffer_load_dwordx4 a[20:23], v37, s[24:27], 0 offen offset:1024// 000000003980: E05C1400 80861425
	s_waitcnt vmcnt(8)                                         // 000000003988: BF8C0F78
	v_mfma_scale_f32_16x16x128_f8f6f4 v[84:87], a[56:59], v[112:115], v[84:87], v26, v19 op_sel_hi:[0,0,0] cbsz:4 blgp:4// 00000000398C: D3AC6000 1802271A D3AD0C54 8D52E138
	v_mfma_scale_f32_16x16x128_f8f6f4 v[100:103], a[56:59], v[120:123], v[100:103], v26, v19 op_sel_hi:[0,0,0] cbsz:4 blgp:4// 00000000399C: D3AC7000 1802271A D3AD0C64 8D92F138
	buffer_load_dwordx4 a[24:27], v38, s[24:27], 0 offen offset:1024// 0000000039AC: E05C1400 80861826
	v_mfma_scale_f32_16x16x128_f8f6f4 v[88:91], a[60:63], v[112:115], v[88:91], v26, v19 op_sel_hi:[0,0,0] cbsz:4 blgp:4// 0000000039B4: D3AC6800 1802271A D3AD0C58 8D62E13C
	v_mfma_scale_f32_16x16x128_f8f6f4 v[104:107], a[60:63], v[120:123], v[104:107], v26, v19 op_sel_hi:[0,0,0] cbsz:4 blgp:4// 0000000039C4: D3AC7800 1802271A D3AD0C68 8DA2F13C
	buffer_load_dwordx4 a[28:31], v39, s[24:27], 0 offen offset:1024// 0000000039D4: E05C1400 80861C27
	s_add_u32 s60, 0x200, s80                                  // 0000000039DC: 803C50FF 00000200
	s_cmp_lt_u32 s60, s81                                      // 0000000039E4: BF0A513C
	s_cselect_b32 s57, s57, 0                                  // 0000000039E8: 85398039
	s_cselect_b32 s3, s3, 0                                    // 0000000039EC: 85038003
	s_add_u32 s60, 0x200, s80                                  // 0000000039F0: 803C50FF 00000200
	s_cmp_lt_u32 s60, s81                                      // 0000000039F8: BF0A513C
	s_cselect_b32 s58, s58, 0                                  // 0000000039FC: 853A803A
	s_add_u32 s20, s57, s20                                    // 000000003A00: 80141439
	s_addc_u32 s21, 0, s21                                     // 000000003A04: 82151580
	s_add_u32 s28, s3, s28                                     // 000000003A08: 801C1C03
	s_addc_u32 s29, 0, s29                                     // 000000003A0C: 821D1D80
	s_add_u32 s24, s58, s24                                    // 000000003A10: 8018183A
	s_addc_u32 s25, 0, s25                                     // 000000003A14: 82191980
	s_add_u32 s92, s90, s92                                    // 000000003A18: 805C5C5A
	s_addc_u32 s93, 0, s93                                     // 000000003A1C: 825D5D80
	s_addk_i32 s80, 0x100                                      // 000000003A20: B7500100
	s_cmp_lt_i32 s80, s81                                      // 000000003A24: BF045150
	s_cbranch_scc0 label_03E6                                  // 000000003A28: BF8400DB
	s_waitcnt vmcnt(6) lgkmcnt(0)                              // 000000003A2C: BF8C0076
	s_barrier                                                  // 000000003A30: BF8A0000
	v_mfma_scale_f32_16x16x128_f8f6f4 v[44:47], a[0:3], v[124:127], v[44:47], v23, v20 op_sel_hi:[0,0,0] cbsz:4 blgp:4// 000000003A34: D3AC6000 00022917 D3AD0C2C 8CB2F900
	v_mfma_scale_f32_16x16x128_f8f6f4 v[60:63], a[0:3], v[132:135], v[60:63], v23, v20 op_sel_hi:[0,0,0] cbsz:4 blgp:4// 000000003A44: D3AC7000 00022917 D3AD0C3C 8CF30900
	buffer_load_dwordx4 a[32:35], v36, s[92:95], 0 offen       // 000000003A54: E05C1000 80972024
	buffer_load_dwordx4 v35, s[20:23], 0 offen lds             // 000000003A5C: E05D1000 80050023
	s_add_u32 m0, 0, s51                                       // 000000003A64: 807C3380
	v_mfma_scale_f32_16x16x128_f8f6f4 v[48:51], a[4:7], v[124:127], v[48:51], v23, v20 op_sel_hi:[0,0,0] cbsz:4 blgp:4// 000000003A68: D3AC6800 00022917 D3AD0C30 8CC2F904
	v_mfma_scale_f32_16x16x128_f8f6f4 v[64:67], a[4:7], v[132:135], v[64:67], v23, v20 op_sel_hi:[0,0,0] cbsz:4 blgp:4// 000000003A78: D3AC7800 00022917 D3AD0C40 8D030904
	buffer_load_dwordx4 a[36:39], v37, s[92:95], 0 offen       // 000000003A88: E05C1000 80972425
	buffer_load_dword v19, v12, s[28:31], 0 offen              // 000000003A90: E0501000 8007130C
	buffer_load_dword v27, v17, s[32:35], 0 offen              // 000000003A98: E0501000 80081B11
	buffer_load_dword v28, v18, s[32:35], 0 offen              // 000000003AA0: E0501000 80081C12
	s_waitcnt vmcnt(10)                                        // 000000003AA8: BF8C0F7A
	v_mfma_scale_f32_16x16x128_f8f6f4 v[52:55], a[8:11], v[124:127], v[52:55], v24, v20 op_sel_hi:[0,0,0] cbsz:4 blgp:4// 000000003AAC: D3AC6000 00022918 D3AD0C34 8CD2F908
	v_mfma_scale_f32_16x16x128_f8f6f4 v[68:71], a[8:11], v[132:135], v[68:71], v24, v20 op_sel_hi:[0,0,0] cbsz:4 blgp:4// 000000003ABC: D3AC7000 00022918 D3AD0C44 8D130908
	buffer_load_dwordx4 a[40:43], v38, s[92:95], 0 offen       // 000000003ACC: E05C1000 80972826
	v_mfma_scale_f32_16x16x128_f8f6f4 v[56:59], a[12:15], v[124:127], v[56:59], v24, v20 op_sel_hi:[0,0,0] cbsz:4 blgp:4// 000000003AD4: D3AC6800 00022918 D3AD0C38 8CE2F90C
	v_mfma_scale_f32_16x16x128_f8f6f4 v[72:75], a[12:15], v[132:135], v[72:75], v24, v20 op_sel_hi:[0,0,0] cbsz:4 blgp:4// 000000003AE4: D3AC7800 00022918 D3AD0C48 8D23090C
	buffer_load_dwordx4 a[44:47], v39, s[92:95], 0 offen       // 000000003AF4: E05C1000 80972C27
	s_nop 0                                                    // 000000003AFC: BF800000
	s_waitcnt vmcnt(10)                                        // 000000003B00: BF8C0F7A
	v_mfma_scale_f32_16x16x128_f8f6f4 v[44:47], a[16:19], v[128:131], v[44:47], v23, v20 op_sel_hi:[0,0,0] cbsz:4 blgp:4// 000000003B04: D3AC6000 18022917 D3AD0C2C 8CB30110
	v_mfma_scale_f32_16x16x128_f8f6f4 v[60:63], a[16:19], v[136:139], v[60:63], v23, v20 op_sel_hi:[0,0,0] cbsz:4 blgp:4// 000000003B14: D3AC7000 18022917 D3AD0C3C 8CF31110
	buffer_load_dwordx4 a[48:51], v36, s[92:95], 0 offen offset:1024// 000000003B24: E05C1400 80973024
	v_mfma_scale_f32_16x16x128_f8f6f4 v[48:51], a[20:23], v[128:131], v[48:51], v23, v20 op_sel_hi:[0,0,0] cbsz:4 blgp:4// 000000003B2C: D3AC6800 18022917 D3AD0C30 8CC30114
	v_mfma_scale_f32_16x16x128_f8f6f4 v[64:67], a[20:23], v[136:139], v[64:67], v23, v20 op_sel_hi:[0,0,0] cbsz:4 blgp:4// 000000003B3C: D3AC7800 18022917 D3AD0C40 8D031114
	buffer_load_dwordx4 a[52:55], v37, s[92:95], 0 offen offset:1024// 000000003B4C: E05C1400 80973425
	s_waitcnt vmcnt(10)                                        // 000000003B54: BF8C0F7A
	v_mfma_scale_f32_16x16x128_f8f6f4 v[52:55], a[24:27], v[128:131], v[52:55], v24, v20 op_sel_hi:[0,0,0] cbsz:4 blgp:4// 000000003B58: D3AC6000 18022918 D3AD0C34 8CD30118
	v_mfma_scale_f32_16x16x128_f8f6f4 v[68:71], a[24:27], v[136:139], v[68:71], v24, v20 op_sel_hi:[0,0,0] cbsz:4 blgp:4// 000000003B68: D3AC7000 18022918 D3AD0C44 8D131118
	buffer_load_dwordx4 a[56:59], v38, s[92:95], 0 offen offset:1024// 000000003B78: E05C1400 80973826
	v_mfma_scale_f32_16x16x128_f8f6f4 v[56:59], a[28:31], v[128:131], v[56:59], v24, v20 op_sel_hi:[0,0,0] cbsz:4 blgp:4// 000000003B80: D3AC6800 18022918 D3AD0C38 8CE3011C
	v_mfma_scale_f32_16x16x128_f8f6f4 v[72:75], a[28:31], v[136:139], v[72:75], v24, v20 op_sel_hi:[0,0,0] cbsz:4 blgp:4// 000000003B90: D3AC7800 18022918 D3AD0C48 8D23111C
	buffer_load_dwordx4 a[60:63], v39, s[92:95], 0 offen offset:1024// 000000003BA0: E05C1400 80973C27
	s_add_u32 s60, 0x100, s80                                  // 000000003BA8: 803C50FF 00000100
	s_cmp_lt_u32 s60, s81                                      // 000000003BB0: BF0A513C
	s_cselect_b32 s4, s4, 0                                    // 000000003BB4: 85048004
	s_add_u32 s32, s4, s32                                     // 000000003BB8: 80202004
	s_addc_u32 s33, 0, s33                                     // 000000003BBC: 82212180
	s_waitcnt vmcnt(6)                                         // 000000003BC0: BF8C0F76
	s_barrier                                                  // 000000003BC4: BF8A0000
	v_mfma_scale_f32_16x16x128_f8f6f4 v[76:79], a[32:35], v[124:127], v[76:79], v27, v20 op_sel_hi:[0,0,0] cbsz:4 blgp:4// 000000003BC8: D3AC6000 0002291B D3AD0C4C 8D32F920
	v_mfma_scale_f32_16x16x128_f8f6f4 v[92:95], a[32:35], v[132:135], v[92:95], v27, v20 op_sel_hi:[0,0,0] cbsz:4 blgp:4// 000000003BD8: D3AC7000 0002291B D3AD0C5C 8D730920
	buffer_load_dwordx4 a[0:3], v36, s[24:27], 0 offen         // 000000003BE8: E05C1000 80860024
	buffer_load_dword v21, v15, s[32:35], 0 offen              // 000000003BF0: E0501000 8008150F
	buffer_load_dword v22, v16, s[32:35], 0 offen              // 000000003BF8: E0501000 80081610
	v_mfma_scale_f32_16x16x128_f8f6f4 v[80:83], a[36:39], v[124:127], v[80:83], v27, v20 op_sel_hi:[0,0,0] cbsz:4 blgp:4// 000000003C00: D3AC6800 0002291B D3AD0C50 8D42F924
	v_mfma_scale_f32_16x16x128_f8f6f4 v[96:99], a[36:39], v[132:135], v[96:99], v27, v20 op_sel_hi:[0,0,0] cbsz:4 blgp:4// 000000003C10: D3AC7800 0002291B D3AD0C60 8D830924
	buffer_load_dwordx4 a[4:7], v37, s[24:27], 0 offen         // 000000003C20: E05C1000 80860425
	s_waitcnt vmcnt(8)                                         // 000000003C28: BF8C0F78
	v_mfma_scale_f32_16x16x128_f8f6f4 v[84:87], a[40:43], v[124:127], v[84:87], v28, v20 op_sel_hi:[0,0,0] cbsz:4 blgp:4// 000000003C2C: D3AC6000 0002291C D3AD0C54 8D52F928
	v_mfma_scale_f32_16x16x128_f8f6f4 v[100:103], a[40:43], v[132:135], v[100:103], v28, v20 op_sel_hi:[0,0,0] cbsz:4 blgp:4// 000000003C3C: D3AC7000 0002291C D3AD0C64 8D930928
	buffer_load_dwordx4 a[8:11], v38, s[24:27], 0 offen        // 000000003C4C: E05C1000 80860826
	v_mfma_scale_f32_16x16x128_f8f6f4 v[88:91], a[44:47], v[124:127], v[88:91], v28, v20 op_sel_hi:[0,0,0] cbsz:4 blgp:4// 000000003C54: D3AC6800 0002291C D3AD0C58 8D62F92C
	v_mfma_scale_f32_16x16x128_f8f6f4 v[104:107], a[44:47], v[132:135], v[104:107], v28, v20 op_sel_hi:[0,0,0] cbsz:4 blgp:4// 000000003C64: D3AC7800 0002291C D3AD0C68 8DA3092C
	buffer_load_dwordx4 a[12:15], v39, s[24:27], 0 offen       // 000000003C74: E05C1000 80860C27
	s_waitcnt vmcnt(8)                                         // 000000003C7C: BF8C0F78
	v_mfma_scale_f32_16x16x128_f8f6f4 v[76:79], a[48:51], v[128:131], v[76:79], v27, v20 op_sel_hi:[0,0,0] cbsz:4 blgp:4// 000000003C80: D3AC6000 1802291B D3AD0C4C 8D330130
	ds_read_b128 v[108:111], v6                                // 000000003C90: D9FE0000 6C000006
	ds_read_b128 v[112:115], v6 offset:64                      // 000000003C98: D9FE0040 70000006
	v_mfma_scale_f32_16x16x128_f8f6f4 v[92:95], a[48:51], v[136:139], v[92:95], v27, v20 op_sel_hi:[0,0,0] cbsz:4 blgp:4// 000000003CA0: D3AC7000 1802291B D3AD0C5C 8D731130
	buffer_load_dwordx4 a[16:19], v36, s[24:27], 0 offen offset:1024// 000000003CB0: E05C1400 80861024
	v_mfma_scale_f32_16x16x128_f8f6f4 v[80:83], a[52:55], v[128:131], v[80:83], v27, v20 op_sel_hi:[0,0,0] cbsz:4 blgp:4// 000000003CB8: D3AC6800 1802291B D3AD0C50 8D430134
	ds_read_b128 v[116:119], v6 offset:512                     // 000000003CC8: D9FE0200 74000006
	ds_read_b128 v[120:123], v6 offset:576                     // 000000003CD0: D9FE0240 78000006
	v_mfma_scale_f32_16x16x128_f8f6f4 v[96:99], a[52:55], v[136:139], v[96:99], v27, v20 op_sel_hi:[0,0,0] cbsz:4 blgp:4// 000000003CD8: D3AC7800 1802291B D3AD0C60 8D831134
	buffer_load_dwordx4 a[20:23], v37, s[24:27], 0 offen offset:1024// 000000003CE8: E05C1400 80861425
	s_waitcnt vmcnt(8)                                         // 000000003CF0: BF8C0F78
	v_mfma_scale_f32_16x16x128_f8f6f4 v[84:87], a[56:59], v[128:131], v[84:87], v28, v20 op_sel_hi:[0,0,0] cbsz:4 blgp:4// 000000003CF4: D3AC6000 1802291C D3AD0C54 8D530138
	v_mfma_scale_f32_16x16x128_f8f6f4 v[100:103], a[56:59], v[136:139], v[100:103], v28, v20 op_sel_hi:[0,0,0] cbsz:4 blgp:4// 000000003D04: D3AC7000 1802291C D3AD0C64 8D931138
	buffer_load_dwordx4 a[24:27], v38, s[24:27], 0 offen offset:1024// 000000003D14: E05C1400 80861826
	v_mfma_scale_f32_16x16x128_f8f6f4 v[88:91], a[60:63], v[128:131], v[88:91], v28, v20 op_sel_hi:[0,0,0] cbsz:4 blgp:4// 000000003D1C: D3AC6800 1802291C D3AD0C58 8D63013C
	v_mfma_scale_f32_16x16x128_f8f6f4 v[104:107], a[60:63], v[136:139], v[104:107], v28, v20 op_sel_hi:[0,0,0] cbsz:4 blgp:4// 000000003D2C: D3AC7800 1802291C D3AD0C68 8DA3113C
	buffer_load_dwordx4 a[28:31], v39, s[24:27], 0 offen offset:1024// 000000003D3C: E05C1400 80861C27
	s_add_u32 s60, 0x200, s80                                  // 000000003D44: 803C50FF 00000200
	s_cmp_lt_u32 s60, s81                                      // 000000003D4C: BF0A513C
	s_cselect_b32 s57, s57, 0                                  // 000000003D50: 85398039
	s_cselect_b32 s3, s3, 0                                    // 000000003D54: 85038003
	s_add_u32 s60, 0x200, s80                                  // 000000003D58: 803C50FF 00000200
	s_cmp_lt_u32 s60, s81                                      // 000000003D60: BF0A513C
	s_cselect_b32 s58, s58, 0                                  // 000000003D64: 853A803A
	s_add_u32 s20, s57, s20                                    // 000000003D68: 80141439
	s_addc_u32 s21, 0, s21                                     // 000000003D6C: 82151580
	s_add_u32 s28, s3, s28                                     // 000000003D70: 801C1C03
	s_addc_u32 s29, 0, s29                                     // 000000003D74: 821D1D80
	s_add_u32 s24, s58, s24                                    // 000000003D78: 8018183A
	s_addc_u32 s25, 0, s25                                     // 000000003D7C: 82191980
	s_add_u32 s92, s90, s92                                    // 000000003D80: 805C5C5A
	s_addc_u32 s93, 0, s93                                     // 000000003D84: 825D5D80
	s_addk_i32 s80, 0x100                                      // 000000003D88: B7500100
	s_cmp_lt_i32 s80, s81                                      // 000000003D8C: BF045150
	s_cbranch_scc0 label_03E6                                  // 000000003D90: BF840001
	s_branch label_0231                                        // 000000003D94: BF82FE4B

0000000000003d98 <label_03E6>:
	s_mov_b32 s36, -1                                          // 000000003D98: BEA400C1
	s_mov_b32 s37, -1                                          // 000000003D9C: BEA500C1
	s_mov_b64 s[60:61], 0                                      // 000000003DA0: BEBC0180
	s_cmp_lt_u32 s82, s66                                      // 000000003DA4: BF0A4252
	s_cselect_b64 s[20:21], s[36:37], s[60:61]                 // 000000003DA8: 85943C24
	s_cmp_lt_u32 s83, s66                                      // 000000003DAC: BF0A4253
	s_cselect_b64 s[22:23], s[36:37], s[60:61]                 // 000000003DB0: 85963C24
	s_cmp_lt_u32 s84, s66                                      // 000000003DB4: BF0A4254
	s_cselect_b64 s[24:25], s[36:37], s[60:61]                 // 000000003DB8: 85983C24
	s_cmp_lt_u32 s85, s66                                      // 000000003DBC: BF0A4255
	s_cselect_b64 s[26:27], s[36:37], s[60:61]                 // 000000003DC0: 859A3C24
	s_cmp_lt_u32 s86, s66                                      // 000000003DC4: BF0A4256
	s_cselect_b64 s[28:29], s[36:37], s[60:61]                 // 000000003DC8: 859C3C24
	s_cmp_lt_u32 s87, s66                                      // 000000003DCC: BF0A4257
	s_cselect_b64 s[30:31], s[36:37], s[60:61]                 // 000000003DD0: 859E3C24
	s_cmp_lt_u32 s88, s66                                      // 000000003DD4: BF0A4258
	s_cselect_b64 s[32:33], s[36:37], s[60:61]                 // 000000003DD8: 85A03C24
	s_cmp_lt_u32 s89, s66                                      // 000000003DDC: BF0A4259
	s_cselect_b64 s[34:35], s[36:37], s[60:61]                 // 000000003DE0: 85A23C24
	v_mov_b32_e32 v1, 0xbfcc4231                               // 000000003DE4: 7E0202FF BFCC4231
	s_waitcnt vmcnt(6)                                         // 000000003DEC: BF8C0F76
	buffer_load_dwordx4 a[0:3], v40, s[12:15], 0 offen         // 000000003DF0: E05C1000 80830028
	v_mul_f32_e32 v2, v44, v44                                 // 000000003DF8: 0A04592C
	v_mul_f32_e32 v3, v45, v45                                 // 000000003DFC: 0A065B2D
	v_mul_f32_e32 v4, v46, v46                                 // 000000003E00: 0A085D2E
	v_mul_f32_e32 v5, v47, v47                                 // 000000003E04: 0A0A5F2F
	v_fma_f32 v2, v2, s77, v1                                  // 000000003E08: D1CB0002 04049B02
	v_fma_f32 v3, v3, s77, v1                                  // 000000003E10: D1CB0003 04049B03
	v_fma_f32 v4, v4, s77, v1                                  // 000000003E18: D1CB0004 04049B04
	v_fma_f32 v5, v5, s77, v1                                  // 000000003E20: D1CB0005 04049B05
	v_mul_f32_e32 v2, v2, v44                                  // 000000003E28: 0A045902
	v_mul_f32_e32 v3, v3, v45                                  // 000000003E2C: 0A065B03
	v_mul_f32_e32 v4, v4, v46                                  // 000000003E30: 0A085D04
	v_mul_f32_e32 v5, v5, v47                                  // 000000003E34: 0A0A5F05
	v_mul_f32_e64 v2, v2, s6                                   // 000000003E38: D1050002 00000D02
	v_mul_f32_e64 v3, v3, s6                                   // 000000003E40: D1050003 00000D03
	v_mul_f32_e64 v4, v4, s6                                   // 000000003E48: D1050004 00000D04
	v_mul_f32_e64 v5, v5, s6                                   // 000000003E50: D1050005 00000D05
	v_exp_f32_e32 v2, v2                                       // 000000003E58: 7E044102
	v_exp_f32_e32 v3, v3                                       // 000000003E5C: 7E064103
	v_exp_f32_e32 v4, v4                                       // 000000003E60: 7E084104
	v_exp_f32_e32 v5, v5                                       // 000000003E64: 7E0A4105
	buffer_load_dwordx4 a[4:7], v41, s[12:15], 0 offen         // 000000003E68: E05C1000 80830429
	v_add_f32_e64 v2, v2, 1.0                                  // 000000003E70: D1010002 0001E502
	v_add_f32_e64 v3, v3, 1.0                                  // 000000003E78: D1010003 0001E503
	v_add_f32_e64 v4, v4, 1.0                                  // 000000003E80: D1010004 0001E504
	v_add_f32_e64 v5, v5, 1.0                                  // 000000003E88: D1010005 0001E505
	v_rcp_f32_e32 v2, v2                                       // 000000003E90: 7E044502
	v_rcp_f32_e32 v3, v3                                       // 000000003E94: 7E064503
	v_rcp_f32_e32 v4, v4                                       // 000000003E98: 7E084504
	v_rcp_f32_e32 v5, v5                                       // 000000003E9C: 7E0A4505
	v_mul_f32_e32 v44, v44, v2                                 // 000000003EA0: 0A58052C
	v_mul_f32_e32 v45, v45, v3                                 // 000000003EA4: 0A5A072D
	v_mul_f32_e32 v46, v46, v4                                 // 000000003EA8: 0A5C092E
	v_mul_f32_e32 v47, v47, v5                                 // 000000003EAC: 0A5E0B2F
	v_mul_f32_e32 v44, v44, v76                                // 000000003EB0: 0A58992C
	v_mul_f32_e32 v45, v45, v77                                // 000000003EB4: 0A5A9B2D
	v_mul_f32_e32 v46, v46, v78                                // 000000003EB8: 0A5C9D2E
	v_mul_f32_e32 v47, v47, v79                                // 000000003EBC: 0A5E9F2F
	s_waitcnt vmcnt(6)                                         // 000000003EC0: BF8C0F76
	buffer_load_dwordx4 a[8:11], v42, s[12:15], 0 offen        // 000000003EC4: E05C1000 8083082A
	v_mul_f32_e32 v2, v48, v48                                 // 000000003ECC: 0A046130
	v_mul_f32_e32 v3, v49, v49                                 // 000000003ED0: 0A066331
	v_mul_f32_e32 v4, v50, v50                                 // 000000003ED4: 0A086532
	v_mul_f32_e32 v5, v51, v51                                 // 000000003ED8: 0A0A6733
	v_fma_f32 v2, v2, s77, v1                                  // 000000003EDC: D1CB0002 04049B02
	v_fma_f32 v3, v3, s77, v1                                  // 000000003EE4: D1CB0003 04049B03
	v_fma_f32 v4, v4, s77, v1                                  // 000000003EEC: D1CB0004 04049B04
	v_fma_f32 v5, v5, s77, v1                                  // 000000003EF4: D1CB0005 04049B05
	v_mul_f32_e32 v2, v2, v48                                  // 000000003EFC: 0A046102
	v_mul_f32_e32 v3, v3, v49                                  // 000000003F00: 0A066303
	v_mul_f32_e32 v4, v4, v50                                  // 000000003F04: 0A086504
	v_mul_f32_e32 v5, v5, v51                                  // 000000003F08: 0A0A6705
	v_mul_f32_e64 v2, v2, s6                                   // 000000003F0C: D1050002 00000D02
	v_mul_f32_e64 v3, v3, s6                                   // 000000003F14: D1050003 00000D03
	v_mul_f32_e64 v4, v4, s6                                   // 000000003F1C: D1050004 00000D04
	v_mul_f32_e64 v5, v5, s6                                   // 000000003F24: D1050005 00000D05
	v_exp_f32_e32 v2, v2                                       // 000000003F2C: 7E044102
	v_exp_f32_e32 v3, v3                                       // 000000003F30: 7E064103
	v_exp_f32_e32 v4, v4                                       // 000000003F34: 7E084104
	v_exp_f32_e32 v5, v5                                       // 000000003F38: 7E0A4105
	buffer_load_dwordx4 a[12:15], v43, s[12:15], 0 offen       // 000000003F3C: E05C1000 80830C2B
	v_add_f32_e64 v2, v2, 1.0                                  // 000000003F44: D1010002 0001E502
	v_add_f32_e64 v3, v3, 1.0                                  // 000000003F4C: D1010003 0001E503
	v_add_f32_e64 v4, v4, 1.0                                  // 000000003F54: D1010004 0001E504
	v_add_f32_e64 v5, v5, 1.0                                  // 000000003F5C: D1010005 0001E505
	v_rcp_f32_e32 v2, v2                                       // 000000003F64: 7E044502
	v_rcp_f32_e32 v3, v3                                       // 000000003F68: 7E064503
	v_rcp_f32_e32 v4, v4                                       // 000000003F6C: 7E084504
	v_rcp_f32_e32 v5, v5                                       // 000000003F70: 7E0A4505
	v_mul_f32_e32 v48, v48, v2                                 // 000000003F74: 0A600530
	v_mul_f32_e32 v49, v49, v3                                 // 000000003F78: 0A620731
	v_mul_f32_e32 v50, v50, v4                                 // 000000003F7C: 0A640932
	v_mul_f32_e32 v51, v51, v5                                 // 000000003F80: 0A660B33
	v_mul_f32_e32 v48, v48, v80                                // 000000003F84: 0A60A130
	v_mul_f32_e32 v49, v49, v81                                // 000000003F88: 0A62A331
	v_mul_f32_e32 v50, v50, v82                                // 000000003F8C: 0A64A532
	v_mul_f32_e32 v51, v51, v83                                // 000000003F90: 0A66A733
	s_waitcnt vmcnt(6)                                         // 000000003F94: BF8C0F76
	buffer_load_dwordx4 a[16:19], v40, s[12:15], 0 offen offset:1024// 000000003F98: E05C1400 80831028
	v_mul_f32_e32 v2, v52, v52                                 // 000000003FA0: 0A046934
	v_mul_f32_e32 v3, v53, v53                                 // 000000003FA4: 0A066B35
	v_mul_f32_e32 v4, v54, v54                                 // 000000003FA8: 0A086D36
	v_mul_f32_e32 v5, v55, v55                                 // 000000003FAC: 0A0A6F37
	v_fma_f32 v2, v2, s77, v1                                  // 000000003FB0: D1CB0002 04049B02
	v_fma_f32 v3, v3, s77, v1                                  // 000000003FB8: D1CB0003 04049B03
	v_fma_f32 v4, v4, s77, v1                                  // 000000003FC0: D1CB0004 04049B04
	v_fma_f32 v5, v5, s77, v1                                  // 000000003FC8: D1CB0005 04049B05
	v_mul_f32_e32 v2, v2, v52                                  // 000000003FD0: 0A046902
	v_mul_f32_e32 v3, v3, v53                                  // 000000003FD4: 0A066B03
	v_mul_f32_e32 v4, v4, v54                                  // 000000003FD8: 0A086D04
	v_mul_f32_e32 v5, v5, v55                                  // 000000003FDC: 0A0A6F05
	v_mul_f32_e64 v2, v2, s6                                   // 000000003FE0: D1050002 00000D02
	v_mul_f32_e64 v3, v3, s6                                   // 000000003FE8: D1050003 00000D03
	v_mul_f32_e64 v4, v4, s6                                   // 000000003FF0: D1050004 00000D04
	v_mul_f32_e64 v5, v5, s6                                   // 000000003FF8: D1050005 00000D05
	v_exp_f32_e32 v2, v2                                       // 000000004000: 7E044102
	v_exp_f32_e32 v3, v3                                       // 000000004004: 7E064103
	v_exp_f32_e32 v4, v4                                       // 000000004008: 7E084104
	v_exp_f32_e32 v5, v5                                       // 00000000400C: 7E0A4105
	buffer_load_dwordx4 a[20:23], v41, s[12:15], 0 offen offset:1024// 000000004010: E05C1400 80831429
	v_add_f32_e64 v2, v2, 1.0                                  // 000000004018: D1010002 0001E502
	v_add_f32_e64 v3, v3, 1.0                                  // 000000004020: D1010003 0001E503
	v_add_f32_e64 v4, v4, 1.0                                  // 000000004028: D1010004 0001E504
	v_add_f32_e64 v5, v5, 1.0                                  // 000000004030: D1010005 0001E505
	v_rcp_f32_e32 v2, v2                                       // 000000004038: 7E044502
	v_rcp_f32_e32 v3, v3                                       // 00000000403C: 7E064503
	v_rcp_f32_e32 v4, v4                                       // 000000004040: 7E084504
	v_rcp_f32_e32 v5, v5                                       // 000000004044: 7E0A4505
	v_mul_f32_e32 v52, v52, v2                                 // 000000004048: 0A680534
	v_mul_f32_e32 v53, v53, v3                                 // 00000000404C: 0A6A0735
	v_mul_f32_e32 v54, v54, v4                                 // 000000004050: 0A6C0936
	v_mul_f32_e32 v55, v55, v5                                 // 000000004054: 0A6E0B37
	v_mul_f32_e32 v52, v52, v84                                // 000000004058: 0A68A934
	v_mul_f32_e32 v53, v53, v85                                // 00000000405C: 0A6AAB35
	v_mul_f32_e32 v54, v54, v86                                // 000000004060: 0A6CAD36
	v_mul_f32_e32 v55, v55, v87                                // 000000004064: 0A6EAF37
	s_waitcnt vmcnt(6)                                         // 000000004068: BF8C0F76
	buffer_load_dwordx4 a[24:27], v42, s[12:15], 0 offen offset:1024// 00000000406C: E05C1400 8083182A
	v_mul_f32_e32 v2, v56, v56                                 // 000000004074: 0A047138
	v_mul_f32_e32 v3, v57, v57                                 // 000000004078: 0A067339
	v_mul_f32_e32 v4, v58, v58                                 // 00000000407C: 0A08753A
	v_mul_f32_e32 v5, v59, v59                                 // 000000004080: 0A0A773B
	v_fma_f32 v2, v2, s77, v1                                  // 000000004084: D1CB0002 04049B02
	v_fma_f32 v3, v3, s77, v1                                  // 00000000408C: D1CB0003 04049B03
	v_fma_f32 v4, v4, s77, v1                                  // 000000004094: D1CB0004 04049B04
	v_fma_f32 v5, v5, s77, v1                                  // 00000000409C: D1CB0005 04049B05
	v_mul_f32_e32 v2, v2, v56                                  // 0000000040A4: 0A047102
	v_mul_f32_e32 v3, v3, v57                                  // 0000000040A8: 0A067303
	v_mul_f32_e32 v4, v4, v58                                  // 0000000040AC: 0A087504
	v_mul_f32_e32 v5, v5, v59                                  // 0000000040B0: 0A0A7705
	v_mul_f32_e64 v2, v2, s6                                   // 0000000040B4: D1050002 00000D02
	v_mul_f32_e64 v3, v3, s6                                   // 0000000040BC: D1050003 00000D03
	v_mul_f32_e64 v4, v4, s6                                   // 0000000040C4: D1050004 00000D04
	v_mul_f32_e64 v5, v5, s6                                   // 0000000040CC: D1050005 00000D05
	v_exp_f32_e32 v2, v2                                       // 0000000040D4: 7E044102
	v_exp_f32_e32 v3, v3                                       // 0000000040D8: 7E064103
	v_exp_f32_e32 v4, v4                                       // 0000000040DC: 7E084104
	v_exp_f32_e32 v5, v5                                       // 0000000040E0: 7E0A4105
	buffer_load_dwordx4 a[28:31], v43, s[12:15], 0 offen offset:1024// 0000000040E4: E05C1400 80831C2B
	v_add_f32_e64 v2, v2, 1.0                                  // 0000000040EC: D1010002 0001E502
	v_add_f32_e64 v3, v3, 1.0                                  // 0000000040F4: D1010003 0001E503
	v_add_f32_e64 v4, v4, 1.0                                  // 0000000040FC: D1010004 0001E504
	v_add_f32_e64 v5, v5, 1.0                                  // 000000004104: D1010005 0001E505
	v_rcp_f32_e32 v2, v2                                       // 00000000410C: 7E044502
	v_rcp_f32_e32 v3, v3                                       // 000000004110: 7E064503
	v_rcp_f32_e32 v4, v4                                       // 000000004114: 7E084504
	v_rcp_f32_e32 v5, v5                                       // 000000004118: 7E0A4505
	v_mul_f32_e32 v56, v56, v2                                 // 00000000411C: 0A700538
	v_mul_f32_e32 v57, v57, v3                                 // 000000004120: 0A720739
	v_mul_f32_e32 v58, v58, v4                                 // 000000004124: 0A74093A
	v_mul_f32_e32 v59, v59, v5                                 // 000000004128: 0A760B3B
	v_mul_f32_e32 v56, v56, v88                                // 00000000412C: 0A70B138
	v_mul_f32_e32 v57, v57, v89                                // 000000004130: 0A72B339
	v_mul_f32_e32 v58, v58, v90                                // 000000004134: 0A74B53A
	v_mul_f32_e32 v59, v59, v91                                // 000000004138: 0A76B73B
	s_waitcnt vmcnt(6)                                         // 00000000413C: BF8C0F76
	v_mul_f32_e32 v2, v60, v60                                 // 000000004140: 0A04793C
	v_mul_f32_e32 v3, v61, v61                                 // 000000004144: 0A067B3D
	v_mul_f32_e32 v4, v62, v62                                 // 000000004148: 0A087D3E
	v_mul_f32_e32 v5, v63, v63                                 // 00000000414C: 0A0A7F3F
	v_fma_f32 v2, v2, s77, v1                                  // 000000004150: D1CB0002 04049B02
	v_fma_f32 v3, v3, s77, v1                                  // 000000004158: D1CB0003 04049B03
	v_fma_f32 v4, v4, s77, v1                                  // 000000004160: D1CB0004 04049B04
	v_fma_f32 v5, v5, s77, v1                                  // 000000004168: D1CB0005 04049B05
	v_mul_f32_e32 v2, v2, v60                                  // 000000004170: 0A047902
	v_mul_f32_e32 v3, v3, v61                                  // 000000004174: 0A067B03
	v_mul_f32_e32 v4, v4, v62                                  // 000000004178: 0A087D04
	v_mul_f32_e32 v5, v5, v63                                  // 00000000417C: 0A0A7F05
	v_mul_f32_e64 v2, v2, s6                                   // 000000004180: D1050002 00000D02
	v_mul_f32_e64 v3, v3, s6                                   // 000000004188: D1050003 00000D03
	v_mul_f32_e64 v4, v4, s6                                   // 000000004190: D1050004 00000D04
	v_mul_f32_e64 v5, v5, s6                                   // 000000004198: D1050005 00000D05
	v_exp_f32_e32 v2, v2                                       // 0000000041A0: 7E044102
	v_exp_f32_e32 v3, v3                                       // 0000000041A4: 7E064103
	v_exp_f32_e32 v4, v4                                       // 0000000041A8: 7E084104
	v_exp_f32_e32 v5, v5                                       // 0000000041AC: 7E0A4105
	v_add_f32_e64 v2, v2, 1.0                                  // 0000000041B0: D1010002 0001E502
	v_add_f32_e64 v3, v3, 1.0                                  // 0000000041B8: D1010003 0001E503
	v_add_f32_e64 v4, v4, 1.0                                  // 0000000041C0: D1010004 0001E504
	v_add_f32_e64 v5, v5, 1.0                                  // 0000000041C8: D1010005 0001E505
	v_rcp_f32_e32 v2, v2                                       // 0000000041D0: 7E044502
	v_rcp_f32_e32 v3, v3                                       // 0000000041D4: 7E064503
	v_rcp_f32_e32 v4, v4                                       // 0000000041D8: 7E084504
	v_rcp_f32_e32 v5, v5                                       // 0000000041DC: 7E0A4505
	v_mul_f32_e32 v60, v60, v2                                 // 0000000041E0: 0A78053C
	v_mul_f32_e32 v61, v61, v3                                 // 0000000041E4: 0A7A073D
	v_mul_f32_e32 v62, v62, v4                                 // 0000000041E8: 0A7C093E
	v_mul_f32_e32 v63, v63, v5                                 // 0000000041EC: 0A7E0B3F
	v_mul_f32_e32 v60, v60, v92                                // 0000000041F0: 0A78B93C
	v_mul_f32_e32 v61, v61, v93                                // 0000000041F4: 0A7ABB3D
	v_mul_f32_e32 v62, v62, v94                                // 0000000041F8: 0A7CBD3E
	v_mul_f32_e32 v63, v63, v95                                // 0000000041FC: 0A7EBF3F
	s_waitcnt vmcnt(6)                                         // 000000004200: BF8C0F76
	v_mul_f32_e32 v2, v64, v64                                 // 000000004204: 0A048140
	v_mul_f32_e32 v3, v65, v65                                 // 000000004208: 0A068341
	v_mul_f32_e32 v4, v66, v66                                 // 00000000420C: 0A088542
	v_mul_f32_e32 v5, v67, v67                                 // 000000004210: 0A0A8743
	v_fma_f32 v2, v2, s77, v1                                  // 000000004214: D1CB0002 04049B02
	v_fma_f32 v3, v3, s77, v1                                  // 00000000421C: D1CB0003 04049B03
	v_fma_f32 v4, v4, s77, v1                                  // 000000004224: D1CB0004 04049B04
	v_fma_f32 v5, v5, s77, v1                                  // 00000000422C: D1CB0005 04049B05
	v_mul_f32_e32 v2, v2, v64                                  // 000000004234: 0A048102
	v_mul_f32_e32 v3, v3, v65                                  // 000000004238: 0A068303
	v_mul_f32_e32 v4, v4, v66                                  // 00000000423C: 0A088504
	v_mul_f32_e32 v5, v5, v67                                  // 000000004240: 0A0A8705
	v_mul_f32_e64 v2, v2, s6                                   // 000000004244: D1050002 00000D02
	v_mul_f32_e64 v3, v3, s6                                   // 00000000424C: D1050003 00000D03
	v_mul_f32_e64 v4, v4, s6                                   // 000000004254: D1050004 00000D04
	v_mul_f32_e64 v5, v5, s6                                   // 00000000425C: D1050005 00000D05
	v_exp_f32_e32 v2, v2                                       // 000000004264: 7E044102
	v_exp_f32_e32 v3, v3                                       // 000000004268: 7E064103
	v_exp_f32_e32 v4, v4                                       // 00000000426C: 7E084104
	v_exp_f32_e32 v5, v5                                       // 000000004270: 7E0A4105
	v_add_f32_e64 v2, v2, 1.0                                  // 000000004274: D1010002 0001E502
	v_add_f32_e64 v3, v3, 1.0                                  // 00000000427C: D1010003 0001E503
	v_add_f32_e64 v4, v4, 1.0                                  // 000000004284: D1010004 0001E504
	v_add_f32_e64 v5, v5, 1.0                                  // 00000000428C: D1010005 0001E505
	v_rcp_f32_e32 v2, v2                                       // 000000004294: 7E044502
	v_rcp_f32_e32 v3, v3                                       // 000000004298: 7E064503
	v_rcp_f32_e32 v4, v4                                       // 00000000429C: 7E084504
	v_rcp_f32_e32 v5, v5                                       // 0000000042A0: 7E0A4505
	v_mul_f32_e32 v64, v64, v2                                 // 0000000042A4: 0A800540
	v_mul_f32_e32 v65, v65, v3                                 // 0000000042A8: 0A820741
	v_mul_f32_e32 v66, v66, v4                                 // 0000000042AC: 0A840942
	v_mul_f32_e32 v67, v67, v5                                 // 0000000042B0: 0A860B43
	v_mul_f32_e32 v64, v64, v96                                // 0000000042B4: 0A80C140
	v_mul_f32_e32 v65, v65, v97                                // 0000000042B8: 0A82C341
	v_mul_f32_e32 v66, v66, v98                                // 0000000042BC: 0A84C542
	v_mul_f32_e32 v67, v67, v99                                // 0000000042C0: 0A86C743
	s_waitcnt vmcnt(6)                                         // 0000000042C4: BF8C0F76
	v_mul_f32_e32 v2, v68, v68                                 // 0000000042C8: 0A048944
	v_mul_f32_e32 v3, v69, v69                                 // 0000000042CC: 0A068B45
	v_mul_f32_e32 v4, v70, v70                                 // 0000000042D0: 0A088D46
	v_mul_f32_e32 v5, v71, v71                                 // 0000000042D4: 0A0A8F47
	v_fma_f32 v2, v2, s77, v1                                  // 0000000042D8: D1CB0002 04049B02
	v_fma_f32 v3, v3, s77, v1                                  // 0000000042E0: D1CB0003 04049B03
	v_fma_f32 v4, v4, s77, v1                                  // 0000000042E8: D1CB0004 04049B04
	v_fma_f32 v5, v5, s77, v1                                  // 0000000042F0: D1CB0005 04049B05
	v_mul_f32_e32 v2, v2, v68                                  // 0000000042F8: 0A048902
	v_mul_f32_e32 v3, v3, v69                                  // 0000000042FC: 0A068B03
	v_mul_f32_e32 v4, v4, v70                                  // 000000004300: 0A088D04
	v_mul_f32_e32 v5, v5, v71                                  // 000000004304: 0A0A8F05
	v_mul_f32_e64 v2, v2, s6                                   // 000000004308: D1050002 00000D02
	v_mul_f32_e64 v3, v3, s6                                   // 000000004310: D1050003 00000D03
	v_mul_f32_e64 v4, v4, s6                                   // 000000004318: D1050004 00000D04
	v_mul_f32_e64 v5, v5, s6                                   // 000000004320: D1050005 00000D05
	v_exp_f32_e32 v2, v2                                       // 000000004328: 7E044102
	v_exp_f32_e32 v3, v3                                       // 00000000432C: 7E064103
	v_exp_f32_e32 v4, v4                                       // 000000004330: 7E084104
	v_exp_f32_e32 v5, v5                                       // 000000004334: 7E0A4105
	v_add_f32_e64 v2, v2, 1.0                                  // 000000004338: D1010002 0001E502
	v_add_f32_e64 v3, v3, 1.0                                  // 000000004340: D1010003 0001E503
	v_add_f32_e64 v4, v4, 1.0                                  // 000000004348: D1010004 0001E504
	v_add_f32_e64 v5, v5, 1.0                                  // 000000004350: D1010005 0001E505
	v_rcp_f32_e32 v2, v2                                       // 000000004358: 7E044502
	v_rcp_f32_e32 v3, v3                                       // 00000000435C: 7E064503
	v_rcp_f32_e32 v4, v4                                       // 000000004360: 7E084504
	v_rcp_f32_e32 v5, v5                                       // 000000004364: 7E0A4505
	v_mul_f32_e32 v68, v68, v2                                 // 000000004368: 0A880544
	v_mul_f32_e32 v69, v69, v3                                 // 00000000436C: 0A8A0745
	v_mul_f32_e32 v70, v70, v4                                 // 000000004370: 0A8C0946
	v_mul_f32_e32 v71, v71, v5                                 // 000000004374: 0A8E0B47
	v_mul_f32_e32 v68, v68, v100                               // 000000004378: 0A88C944
	v_mul_f32_e32 v69, v69, v101                               // 00000000437C: 0A8ACB45
	v_mul_f32_e32 v70, v70, v102                               // 000000004380: 0A8CCD46
	v_mul_f32_e32 v71, v71, v103                               // 000000004384: 0A8ECF47
	s_waitcnt vmcnt(6)                                         // 000000004388: BF8C0F76
	v_mul_f32_e32 v2, v72, v72                                 // 00000000438C: 0A049148
	v_mul_f32_e32 v3, v73, v73                                 // 000000004390: 0A069349
	v_mul_f32_e32 v4, v74, v74                                 // 000000004394: 0A08954A
	v_mul_f32_e32 v5, v75, v75                                 // 000000004398: 0A0A974B
	v_fma_f32 v2, v2, s77, v1                                  // 00000000439C: D1CB0002 04049B02
	v_fma_f32 v3, v3, s77, v1                                  // 0000000043A4: D1CB0003 04049B03
	v_fma_f32 v4, v4, s77, v1                                  // 0000000043AC: D1CB0004 04049B04
	v_fma_f32 v5, v5, s77, v1                                  // 0000000043B4: D1CB0005 04049B05
	v_mul_f32_e32 v2, v2, v72                                  // 0000000043BC: 0A049102
	v_mul_f32_e32 v3, v3, v73                                  // 0000000043C0: 0A069303
	v_mul_f32_e32 v4, v4, v74                                  // 0000000043C4: 0A089504
	v_mul_f32_e32 v5, v5, v75                                  // 0000000043C8: 0A0A9705
	v_mul_f32_e64 v2, v2, s6                                   // 0000000043CC: D1050002 00000D02
	v_mul_f32_e64 v3, v3, s6                                   // 0000000043D4: D1050003 00000D03
	v_mul_f32_e64 v4, v4, s6                                   // 0000000043DC: D1050004 00000D04
	v_mul_f32_e64 v5, v5, s6                                   // 0000000043E4: D1050005 00000D05
	v_exp_f32_e32 v2, v2                                       // 0000000043EC: 7E044102
	v_exp_f32_e32 v3, v3                                       // 0000000043F0: 7E064103
	v_exp_f32_e32 v4, v4                                       // 0000000043F4: 7E084104
	v_exp_f32_e32 v5, v5                                       // 0000000043F8: 7E0A4105
	v_add_f32_e64 v2, v2, 1.0                                  // 0000000043FC: D1010002 0001E502
	v_add_f32_e64 v3, v3, 1.0                                  // 000000004404: D1010003 0001E503
	v_add_f32_e64 v4, v4, 1.0                                  // 00000000440C: D1010004 0001E504
	v_add_f32_e64 v5, v5, 1.0                                  // 000000004414: D1010005 0001E505
	v_rcp_f32_e32 v2, v2                                       // 00000000441C: 7E044502
	v_rcp_f32_e32 v3, v3                                       // 000000004420: 7E064503
	v_rcp_f32_e32 v4, v4                                       // 000000004424: 7E084504
	v_rcp_f32_e32 v5, v5                                       // 000000004428: 7E0A4505
	v_mul_f32_e32 v72, v72, v2                                 // 00000000442C: 0A900548
	v_mul_f32_e32 v73, v73, v3                                 // 000000004430: 0A920749
	v_mul_f32_e32 v74, v74, v4                                 // 000000004434: 0A94094A
	v_mul_f32_e32 v75, v75, v5                                 // 000000004438: 0A960B4B
	v_mul_f32_e32 v72, v72, v104                               // 00000000443C: 0A90D148
	v_mul_f32_e32 v73, v73, v105                               // 000000004440: 0A92D349
	v_mul_f32_e32 v74, v74, v106                               // 000000004444: 0A94D54A
	v_mul_f32_e32 v75, v75, v107                               // 000000004448: 0A96D74B
	v_lshlrev_b32_e32 v2, 2, v0                                // 00000000444C: 24040082
	s_mul_i32 s60, s82, s71                                    // 000000004450: 923C4752
	v_add_u32_e64 v92, v2, s60                                 // 000000004454: D134005C 00007902
	v_mov_b32_e32 v93, 0                                       // 00000000445C: 7EBA0280
	s_mul_i32 s60, s83, s71                                    // 000000004460: 923C4753
	v_add_u32_e64 v94, v2, s60                                 // 000000004464: D134005E 00007902
	v_mov_b32_e32 v95, 0                                       // 00000000446C: 7EBE0280
	s_mul_i32 s60, s84, s71                                    // 000000004470: 923C4754
	v_add_u32_e64 v96, v2, s60                                 // 000000004474: D1340060 00007902
	v_mov_b32_e32 v97, 0                                       // 00000000447C: 7EC20280
	s_mul_i32 s60, s85, s71                                    // 000000004480: 923C4755
	v_add_u32_e64 v98, v2, s60                                 // 000000004484: D1340062 00007902
	v_mov_b32_e32 v99, 0                                       // 00000000448C: 7EC60280
	s_mul_i32 s60, s86, s71                                    // 000000004490: 923C4756
	v_add_u32_e64 v100, v2, s60                                // 000000004494: D1340064 00007902
	v_mov_b32_e32 v101, 0                                      // 00000000449C: 7ECA0280
	s_mul_i32 s60, s87, s71                                    // 0000000044A0: 923C4757
	v_add_u32_e64 v102, v2, s60                                // 0000000044A4: D1340066 00007902
	v_mov_b32_e32 v103, 0                                      // 0000000044AC: 7ECE0280
	s_mul_i32 s60, s88, s71                                    // 0000000044B0: 923C4758
	v_add_u32_e64 v104, v2, s60                                // 0000000044B4: D1340068 00007902
	v_mov_b32_e32 v105, 0                                      // 0000000044BC: 7ED20280
	s_mul_i32 s60, s89, s71                                    // 0000000044C0: 923C4759
	v_add_u32_e64 v106, v2, s60                                // 0000000044C4: D134006A 00007902
	v_mov_b32_e32 v107, 0                                      // 0000000044CC: 7ED60280
	buffer_load_dword v21, v10, s[16:19], 0 offen              // 0000000044D0: E0501000 8004150A
	buffer_load_dword v22, v11, s[16:19], 0 offen              // 0000000044D8: E0501000 8004160B
	v_mov_b32_e32 v31, 0x358637bd                              // 0000000044E0: 7E3E02FF 358637BD
	v_mov_b32_e32 v32, 0x358637bd                              // 0000000044E8: 7E4002FF 358637BD
	v_max3_f32 v31, |v44|, |v45|, v31                          // 0000000044F0: D1D3031F 047E5B2C
	v_max3_f32 v31, |v46|, |v47|, v31                          // 0000000044F8: D1D3031F 047E5F2E
	v_max3_f32 v31, |v48|, |v49|, v31                          // 000000004500: D1D3031F 047E6330
	v_max3_f32 v31, |v50|, |v51|, v31                          // 000000004508: D1D3031F 047E6732
	v_max3_f32 v32, |v60|, |v61|, v32                          // 000000004510: D1D30320 04827B3C
	v_max3_f32 v32, |v62|, |v63|, v32                          // 000000004518: D1D30320 04827F3E
	v_max3_f32 v32, |v64|, |v65|, v32                          // 000000004520: D1D30320 04828340
	v_max3_f32 v32, |v66|, |v67|, v32                          // 000000004528: D1D30320 04828742
	v_mov_b32_e32 v2, v31                                      // 000000004530: 7E04031F
	s_nop 1                                                    // 000000004534: BF800001
	v_permlane32_swap_b32_e32 v2, v31                          // 000000004538: 7E04B51F
	v_max_f32_e32 v31, v2, v31                                 // 00000000453C: 163E3F02
	v_mov_b32_e32 v2, v31                                      // 000000004540: 7E04031F
	s_nop 1                                                    // 000000004544: BF800001
	v_permlane16_swap_b32_e32 v2, v31                          // 000000004548: 7E04B31F
	v_max_f32_e32 v31, v2, v31                                 // 00000000454C: 163E3F02
	v_mov_b32_e32 v2, v32                                      // 000000004550: 7E040320
	s_nop 1                                                    // 000000004554: BF800001
	v_permlane32_swap_b32_e32 v2, v32                          // 000000004558: 7E04B520
	v_max_f32_e32 v32, v2, v32                                 // 00000000455C: 16404102
	v_mov_b32_e32 v2, v32                                      // 000000004560: 7E040320
	s_nop 1                                                    // 000000004564: BF800001
	v_permlane16_swap_b32_e32 v2, v32                          // 000000004568: 7E04B320
	v_max_f32_e32 v32, v2, v32                                 // 00000000456C: 16404102
	v_mov_b32_e32 v2, 0x3e800000                               // 000000004570: 7E0402FF 3E800000
	v_mul_f32_e32 v31, v2, v31                                 // 000000004578: 0A3E3F02
	v_mul_f32_e32 v32, v2, v32                                 // 00000000457C: 0A404102
	v_mov_b32_e32 v1, 0x7fff0000                               // 000000004580: 7E0202FF 7FFF0000
	v_mov_b32_e32 v5, 0x7fbfffff                               // 000000004588: 7E0A02FF 7FBFFFFF
	v_bfe_u32 v2, v31, 22, 1                                   // 000000004590: D1C80002 02052D1F
	v_and_b32_e32 v3, v31, v5                                  // 000000004598: 26060B1F
	v_cmp_eq_u32_e64 s[60:61], v3, 0                           // 00000000459C: D0CA003C 00010103
	v_cndmask_b32_e64 v4, 1, 0, s[60:61]                       // 0000000045A4: D1000004 00F10081
	v_and_b32_e32 v4, v4, v2                                   // 0000000045AC: 26080504
	v_bfe_u32 v5, v31, 23, 8                                   // 0000000045B0: D1C80005 02212F1F
	v_add_u32_e32 v5, v5, v4                                   // 0000000045B8: 680A0905
	v_cmp_u_f32_e64 s[60:61], v31, v31                         // 0000000045BC: D048003C 00023F1F
	v_lshlrev_b32_e32 v31, 23, v5                              // 0000000045C4: 243E0A97
	v_cndmask_b32_e64 v31, v31, v1, s[60:61]                   // 0000000045C8: D100001F 00F2031F
	v_mov_b32_e32 v5, 0x7fbfffff                               // 0000000045D0: 7E0A02FF 7FBFFFFF
	v_bfe_u32 v2, v32, 22, 1                                   // 0000000045D8: D1C80002 02052D20
	v_and_b32_e32 v3, v32, v5                                  // 0000000045E0: 26060B20
	v_cmp_eq_u32_e64 s[60:61], v3, 0                           // 0000000045E4: D0CA003C 00010103
	v_cndmask_b32_e64 v4, 1, 0, s[60:61]                       // 0000000045EC: D1000004 00F10081
	v_and_b32_e32 v4, v4, v2                                   // 0000000045F4: 26080504
	v_bfe_u32 v5, v32, 23, 8                                   // 0000000045F8: D1C80005 02212F20
	v_add_u32_e32 v5, v5, v4                                   // 000000004600: 680A0905
	v_cmp_u_f32_e64 s[60:61], v32, v32                         // 000000004604: D048003C 00024120
	v_lshlrev_b32_e32 v32, 23, v5                              // 00000000460C: 24400A97
	v_cndmask_b32_e64 v32, v32, v1, s[60:61]                   // 000000004610: D1000020 00F20320
	s_mov_b32 s60, 0xffff                                      // 000000004618: BEBC00FF 0000FFFF
	v_cvt_scalef32_pk_fp4_f32 v44, v44, v45, v31               // 000000004620: D23D002C 047E5B2C
	v_cvt_scalef32_pk_fp4_f32 v44, v46, v47, v31 op_sel:[0,0,1,0]// 000000004628: D23D202C 047E5F2E
	v_cvt_scalef32_pk_fp4_f32 v48, v48, v49, v31               // 000000004630: D23D0030 047E6330
	v_cvt_scalef32_pk_fp4_f32 v48, v50, v51, v31 op_sel:[0,0,1,0]// 000000004638: D23D2030 047E6732
	s_nop 1                                                    // 000000004640: BF800001
	v_permlane16_swap_b32_e32 v44, v48                         // 000000004644: 7E58B330
	s_nop 1                                                    // 000000004648: BF800001
	v_and_b32_e64 v44, v44, s60                                // 00000000464C: D113002C 0000792C
	v_lshlrev_b32_e32 v48, 16, v48                             // 000000004654: 24606090
	v_or_b32_e32 v44, v44, v48                                 // 000000004658: 2858612C
	v_mov_b32_e32 v48, v44                                     // 00000000465C: 7E60032C
	s_nop 1                                                    // 000000004660: BF800001
	v_permlane32_swap_b32_e32 v44, v48                         // 000000004664: 7E58B530
	s_nop 1                                                    // 000000004668: BF800001
	v_permlane16_swap_b32_e32 v44, v48                         // 00000000466C: 7E58B330
	s_nop 1                                                    // 000000004670: BF800001
	v_permlane32_swap_b32_e32 v44, v48                         // 000000004674: 7E58B530
	s_nop 1                                                    // 000000004678: BF800001
	v_cvt_scalef32_pk_fp4_f32 v60, v60, v61, v32               // 00000000467C: D23D003C 04827B3C
	v_cvt_scalef32_pk_fp4_f32 v60, v62, v63, v32 op_sel:[0,0,1,0]// 000000004684: D23D203C 04827F3E
	v_cvt_scalef32_pk_fp4_f32 v64, v64, v65, v32               // 00000000468C: D23D0040 04828340
	v_cvt_scalef32_pk_fp4_f32 v64, v66, v67, v32 op_sel:[0,0,1,0]// 000000004694: D23D2040 04828742
	s_nop 1                                                    // 00000000469C: BF800001
	v_permlane16_swap_b32_e32 v60, v64                         // 0000000046A0: 7E78B340
	s_nop 1                                                    // 0000000046A4: BF800001
	v_and_b32_e64 v60, v60, s60                                // 0000000046A8: D113003C 0000793C
	v_lshlrev_b32_e32 v64, 16, v64                             // 0000000046B0: 24808090
	v_or_b32_e32 v60, v60, v64                                 // 0000000046B4: 2878813C
	v_mov_b32_e32 v64, v60                                     // 0000000046B8: 7E80033C
	s_nop 1                                                    // 0000000046BC: BF800001
	v_permlane32_swap_b32_e32 v60, v64                         // 0000000046C0: 7E78B540
	s_nop 1                                                    // 0000000046C4: BF800001
	v_permlane16_swap_b32_e32 v60, v64                         // 0000000046C8: 7E78B340
	s_nop 1                                                    // 0000000046CC: BF800001
	v_permlane32_swap_b32_e32 v60, v64                         // 0000000046D0: 7E78B540
	s_nop 1                                                    // 0000000046D4: BF800001
	v_mov_b32_e32 v33, 0x358637bd                              // 0000000046D8: 7E4202FF 358637BD
	v_mov_b32_e32 v34, 0x358637bd                              // 0000000046E0: 7E4402FF 358637BD
	v_max3_f32 v33, |v52|, |v53|, v33                          // 0000000046E8: D1D30321 04866B34
	v_max3_f32 v33, |v54|, |v55|, v33                          // 0000000046F0: D1D30321 04866F36
	v_max3_f32 v33, |v56|, |v57|, v33                          // 0000000046F8: D1D30321 04867338
	v_max3_f32 v33, |v58|, |v59|, v33                          // 000000004700: D1D30321 0486773A
	v_max3_f32 v34, |v68|, |v69|, v34                          // 000000004708: D1D30322 048A8B44
	v_max3_f32 v34, |v70|, |v71|, v34                          // 000000004710: D1D30322 048A8F46
	v_max3_f32 v34, |v72|, |v73|, v34                          // 000000004718: D1D30322 048A9348
	v_max3_f32 v34, |v74|, |v75|, v34                          // 000000004720: D1D30322 048A974A
	v_mov_b32_e32 v2, v33                                      // 000000004728: 7E040321
	s_nop 1                                                    // 00000000472C: BF800001
	v_permlane32_swap_b32_e32 v2, v33                          // 000000004730: 7E04B521
	v_max_f32_e32 v33, v2, v33                                 // 000000004734: 16424302
	v_mov_b32_e32 v2, v33                                      // 000000004738: 7E040321
	s_nop 1                                                    // 00000000473C: BF800001
	v_permlane16_swap_b32_e32 v2, v33                          // 000000004740: 7E04B321
	v_max_f32_e32 v33, v2, v33                                 // 000000004744: 16424302
	v_mov_b32_e32 v2, v34                                      // 000000004748: 7E040322
	s_nop 1                                                    // 00000000474C: BF800001
	v_permlane32_swap_b32_e32 v2, v34                          // 000000004750: 7E04B522
	v_max_f32_e32 v34, v2, v34                                 // 000000004754: 16444502
	v_mov_b32_e32 v2, v34                                      // 000000004758: 7E040322
	s_nop 1                                                    // 00000000475C: BF800001
	v_permlane16_swap_b32_e32 v2, v34                          // 000000004760: 7E04B322
	v_max_f32_e32 v34, v2, v34                                 // 000000004764: 16444502
	v_mov_b32_e32 v2, 0x3e800000                               // 000000004768: 7E0402FF 3E800000
	v_mul_f32_e32 v33, v2, v33                                 // 000000004770: 0A424302
	v_mul_f32_e32 v34, v2, v34                                 // 000000004774: 0A444502
	v_mov_b32_e32 v1, 0x7fff0000                               // 000000004778: 7E0202FF 7FFF0000
	v_mov_b32_e32 v5, 0x7fbfffff                               // 000000004780: 7E0A02FF 7FBFFFFF
	v_bfe_u32 v2, v33, 22, 1                                   // 000000004788: D1C80002 02052D21
	v_and_b32_e32 v3, v33, v5                                  // 000000004790: 26060B21
	v_cmp_eq_u32_e64 s[60:61], v3, 0                           // 000000004794: D0CA003C 00010103
	v_cndmask_b32_e64 v4, 1, 0, s[60:61]                       // 00000000479C: D1000004 00F10081
	v_and_b32_e32 v4, v4, v2                                   // 0000000047A4: 26080504
	v_bfe_u32 v5, v33, 23, 8                                   // 0000000047A8: D1C80005 02212F21
	v_add_u32_e32 v5, v5, v4                                   // 0000000047B0: 680A0905
	v_cmp_u_f32_e64 s[60:61], v33, v33                         // 0000000047B4: D048003C 00024321
	v_lshlrev_b32_e32 v33, 23, v5                              // 0000000047BC: 24420A97
	v_cndmask_b32_e64 v33, v33, v1, s[60:61]                   // 0000000047C0: D1000021 00F20321
	v_mov_b32_e32 v5, 0x7fbfffff                               // 0000000047C8: 7E0A02FF 7FBFFFFF
	v_bfe_u32 v2, v34, 22, 1                                   // 0000000047D0: D1C80002 02052D22
	v_and_b32_e32 v3, v34, v5                                  // 0000000047D8: 26060B22
	v_cmp_eq_u32_e64 s[60:61], v3, 0                           // 0000000047DC: D0CA003C 00010103
	v_cndmask_b32_e64 v4, 1, 0, s[60:61]                       // 0000000047E4: D1000004 00F10081
	v_and_b32_e32 v4, v4, v2                                   // 0000000047EC: 26080504
	v_bfe_u32 v5, v34, 23, 8                                   // 0000000047F0: D1C80005 02212F22
	v_add_u32_e32 v5, v5, v4                                   // 0000000047F8: 680A0905
	v_cmp_u_f32_e64 s[60:61], v34, v34                         // 0000000047FC: D048003C 00024522
	v_lshlrev_b32_e32 v34, 23, v5                              // 000000004804: 24440A97
	v_cndmask_b32_e64 v34, v34, v1, s[60:61]                   // 000000004808: D1000022 00F20322
	s_mov_b32 s60, 0xffff                                      // 000000004810: BEBC00FF 0000FFFF
	v_cvt_scalef32_pk_fp4_f32 v52, v52, v53, v33               // 000000004818: D23D0034 04866B34
	v_cvt_scalef32_pk_fp4_f32 v52, v54, v55, v33 op_sel:[0,0,1,0]// 000000004820: D23D2034 04866F36
	v_cvt_scalef32_pk_fp4_f32 v56, v56, v57, v33               // 000000004828: D23D0038 04867338
	v_cvt_scalef32_pk_fp4_f32 v56, v58, v59, v33 op_sel:[0,0,1,0]// 000000004830: D23D2038 0486773A
	s_nop 1                                                    // 000000004838: BF800001
	v_permlane16_swap_b32_e32 v52, v56                         // 00000000483C: 7E68B338
	s_nop 1                                                    // 000000004840: BF800001
	v_and_b32_e64 v52, v52, s60                                // 000000004844: D1130034 00007934
	v_lshlrev_b32_e32 v56, 16, v56                             // 00000000484C: 24707090
	v_or_b32_e32 v52, v52, v56                                 // 000000004850: 28687134
	v_mov_b32_e32 v56, v52                                     // 000000004854: 7E700334
	s_nop 1                                                    // 000000004858: BF800001
	v_permlane32_swap_b32_e32 v52, v56                         // 00000000485C: 7E68B538
	s_nop 1                                                    // 000000004860: BF800001
	v_permlane16_swap_b32_e32 v52, v56                         // 000000004864: 7E68B338
	s_nop 1                                                    // 000000004868: BF800001
	v_permlane32_swap_b32_e32 v52, v56                         // 00000000486C: 7E68B538
	s_nop 1                                                    // 000000004870: BF800001
	v_cvt_scalef32_pk_fp4_f32 v68, v68, v69, v34               // 000000004874: D23D0044 048A8B44
	v_cvt_scalef32_pk_fp4_f32 v68, v70, v71, v34 op_sel:[0,0,1,0]// 00000000487C: D23D2044 048A8F46
	v_cvt_scalef32_pk_fp4_f32 v72, v72, v73, v34               // 000000004884: D23D0048 048A9348
	v_cvt_scalef32_pk_fp4_f32 v72, v74, v75, v34 op_sel:[0,0,1,0]// 00000000488C: D23D2048 048A974A
	s_nop 1                                                    // 000000004894: BF800001
	v_permlane16_swap_b32_e32 v68, v72                         // 000000004898: 7E88B348
	s_nop 1                                                    // 00000000489C: BF800001
	v_and_b32_e64 v68, v68, s60                                // 0000000048A0: D1130044 00007944
	v_lshlrev_b32_e32 v72, 16, v72                             // 0000000048A8: 24909090
	v_or_b32_e32 v68, v68, v72                                 // 0000000048AC: 28889144
	v_mov_b32_e32 v72, v68                                     // 0000000048B0: 7E900344
	s_nop 1                                                    // 0000000048B4: BF800001
	v_permlane32_swap_b32_e32 v68, v72                         // 0000000048B8: 7E88B548
	s_nop 1                                                    // 0000000048BC: BF800001
	v_permlane16_swap_b32_e32 v68, v72                         // 0000000048C0: 7E88B348
	s_nop 1                                                    // 0000000048C4: BF800001
	v_permlane32_swap_b32_e32 v68, v72                         // 0000000048C8: 7E88B548
	s_nop 1                                                    // 0000000048CC: BF800001
	v_lshrrev_b32_e32 v2, 5, v0                                // 0000000048D0: 20040085
	v_lshlrev_b32_e32 v3, 6, v2                                // 0000000048D4: 24060486
	v_and_b32_e32 v2, 31, v0                                   // 0000000048D8: 2604009F
	v_lshrrev_b32_e32 v4, 4, v2                                // 0000000048DC: 20080484
	v_add_u32_e32 v3, v4, v3                                   // 0000000048E0: 68060704
	v_and_b32_e32 v2, 15, v0                                   // 0000000048E4: 2604008F
	v_lshlrev_b32_e32 v2, 1, v2                                // 0000000048E8: 24040481
	v_add_u32_e32 v3, v2, v3                                   // 0000000048EC: 68060702
	v_lshlrev_b32_e32 v2, 2, v3                                // 0000000048F0: 24040682
	s_mov_b32 s60, 0                                           // 0000000048F4: BEBC0080
	s_lshr_b32 s61, s7, 1                                      // 0000000048F8: 8F3D8107
	s_mul_i32 s61, s61, 0x200                                  // 0000000048FC: 923DFF3D 00000200
	s_add_u32 s60, s61, s60                                    // 000000004904: 803C3C3D
	s_and_b32 s61, s7, 1                                       // 000000004908: 863D8107
	s_mul_i32 s61, s61, 0x80                                   // 00000000490C: 923DFF3D 00000080
	s_add_u32 s60, s61, s60                                    // 000000004914: 803C3C3D
	v_add_u32_e64 v2, v2, s60                                  // 000000004918: D1340002 00007902
	ds_write_b32 v2, v44                                       // 000000004920: D81A0000 00002C02
	ds_write_b32 v2, v52 offset:1024                           // 000000004928: D81A0400 00003402
	ds_write_b32 v2, v60 offset:2048                           // 000000004930: D81A0800 00003C02
	ds_write_b32 v2, v68 offset:3072                           // 000000004938: D81A0C00 00004402
	s_waitcnt lgkmcnt(0)                                       // 000000004940: BF8CC07F
	s_barrier                                                  // 000000004944: BF8A0000
	v_and_b32_e32 v2, 31, v0                                   // 000000004948: 2604009F
	v_lshrrev_b32_e32 v2, 4, v2                                // 00000000494C: 20040484
	v_lshlrev_b32_e32 v3, 5, v2                                // 000000004950: 24060485
	v_lshrrev_b32_e32 v2, 5, v0                                // 000000004954: 20040085
	v_lshlrev_b32_e32 v2, 7, v2                                // 000000004958: 24040487
	v_add_u32_e32 v3, v2, v3                                   // 00000000495C: 68060702
	v_and_b32_e32 v2, 15, v0                                   // 000000004960: 2604008F
	v_lshlrev_b32_e32 v2, 1, v2                                // 000000004964: 24040481
	v_add_u32_e32 v3, v2, v3                                   // 000000004968: 68060702
	v_lshlrev_b32_e32 v2, 2, v3                                // 00000000496C: 24040682
	ds_read_b64 v[44:45], v2                                   // 000000004970: D8EC0000 2C000002
	ds_read_b64 v[46:47], v2 offset:256                        // 000000004978: D8EC0100 2E000002
	ds_read_b64 v[48:49], v2 offset:1024                       // 000000004980: D8EC0400 30000002
	ds_read_b64 v[50:51], v2 offset:1280                       // 000000004988: D8EC0500 32000002
	ds_read_b64 v[52:53], v2 offset:2048                       // 000000004990: D8EC0800 34000002
	ds_read_b64 v[54:55], v2 offset:2304                       // 000000004998: D8EC0900 36000002
	ds_read_b64 v[56:57], v2 offset:3072                       // 0000000049A0: D8EC0C00 38000002
	ds_read_b64 v[58:59], v2 offset:3328                       // 0000000049A8: D8EC0D00 3A000002
	s_waitcnt lgkmcnt(0)                                       // 0000000049B0: BF8CC07F
	s_barrier                                                  // 0000000049B4: BF8A0000
	v_lshrrev_b32_e32 v2, 5, v0                                // 0000000049B8: 20040085
	v_lshlrev_b32_e32 v3, 6, v2                                // 0000000049BC: 24060486
	v_and_b32_e32 v2, 31, v0                                   // 0000000049C0: 2604009F
	v_lshrrev_b32_e32 v4, 4, v2                                // 0000000049C4: 20080484
	v_add_u32_e32 v3, v4, v3                                   // 0000000049C8: 68060704
	v_and_b32_e32 v2, 15, v0                                   // 0000000049CC: 2604008F
	v_lshlrev_b32_e32 v2, 1, v2                                // 0000000049D0: 24040481
	v_add_u32_e32 v3, v2, v3                                   // 0000000049D4: 68060702
	v_lshlrev_b32_e32 v2, 2, v3                                // 0000000049D8: 24040682
	s_mov_b32 s60, 0                                           // 0000000049DC: BEBC0080
	s_lshr_b32 s61, s7, 1                                      // 0000000049E0: 8F3D8107
	s_mul_i32 s61, s61, 0x200                                  // 0000000049E4: 923DFF3D 00000200
	s_add_u32 s60, s61, s60                                    // 0000000049EC: 803C3C3D
	s_and_b32 s61, s7, 1                                       // 0000000049F0: 863D8107
	s_mul_i32 s61, s61, 0x80                                   // 0000000049F4: 923DFF3D 00000080
	s_add_u32 s60, s61, s60                                    // 0000000049FC: 803C3C3D
	v_add_u32_e64 v2, v2, s60                                  // 000000004A00: D1340002 00007902
	ds_write_b32 v2, v31                                       // 000000004A08: D81A0000 00001F02
	ds_write_b32 v2, v33 offset:1024                           // 000000004A10: D81A0400 00002102
	ds_write_b32 v2, v32 offset:2048                           // 000000004A18: D81A0800 00002002
	ds_write_b32 v2, v34 offset:3072                           // 000000004A20: D81A0C00 00002202
	s_waitcnt lgkmcnt(0)                                       // 000000004A28: BF8CC07F
	s_barrier                                                  // 000000004A2C: BF8A0000
	v_and_b32_e32 v2, 31, v0                                   // 000000004A30: 2604009F
	v_lshrrev_b32_e32 v2, 4, v2                                // 000000004A34: 20040484
	v_lshlrev_b32_e32 v3, 5, v2                                // 000000004A38: 24060485
	v_lshrrev_b32_e32 v2, 5, v0                                // 000000004A3C: 20040085
	v_lshlrev_b32_e32 v2, 7, v2                                // 000000004A40: 24040487
	v_add_u32_e32 v3, v2, v3                                   // 000000004A44: 68060702
	v_and_b32_e32 v2, 15, v0                                   // 000000004A48: 2604008F
	v_lshlrev_b32_e32 v2, 1, v2                                // 000000004A4C: 24040481
	v_add_u32_e32 v3, v2, v3                                   // 000000004A50: 68060702
	v_lshlrev_b32_e32 v2, 2, v3                                // 000000004A54: 24040682
	ds_read_b32 v31, v2                                        // 000000004A58: D86C0000 1F000002
	ds_read_b32 v33, v2 offset:1024                            // 000000004A60: D86C0400 21000002
	ds_read_b32 v32, v2 offset:2048                            // 000000004A68: D86C0800 20000002
	ds_read_b32 v34, v2 offset:3072                            // 000000004A70: D86C0C00 22000002
	s_waitcnt lgkmcnt(0)                                       // 000000004A78: BF8CC07F
	s_barrier                                                  // 000000004A7C: BF8A0000
	v_bfe_u32 v31, v31, 23, 8                                  // 000000004A80: D1C8001F 02212F1F
	v_bfe_u32 v32, v32, 23, 8                                  // 000000004A88: D1C80020 02212F20
	v_bfe_u32 v33, v33, 23, 8                                  // 000000004A90: D1C80021 02212F21
	v_bfe_u32 v34, v34, 23, 8                                  // 000000004A98: D1C80022 02212F22
	v_mov_b32_e32 v2, 0                                        // 000000004AA0: 7E040280
	v_lshlrev_b32_e32 v31, 0, v31                              // 000000004AA4: 243E3E80
	v_or_b32_e32 v2, v2, v31                                   // 000000004AA8: 28043F02
	v_lshlrev_b32_e32 v32, 8, v32                              // 000000004AAC: 24404088
	v_or_b32_e32 v2, v2, v32                                   // 000000004AB0: 28044102
	v_lshlrev_b32_e32 v33, 16, v33                             // 000000004AB4: 24424290
	v_or_b32_e32 v2, v2, v33                                   // 000000004AB8: 28044302
	v_lshlrev_b32_e32 v34, 24, v34                             // 000000004ABC: 24444498
	v_or_b32_e32 v2, v2, v34                                   // 000000004AC0: 28044502
	v_mov_b32_e32 v31, v2                                      // 000000004AC4: 7E3E0302
	s_add_u32 s12, s56, s12                                    // 000000004AC8: 800C0C38
	s_addc_u32 s13, 0, s13                                     // 000000004ACC: 820D0D80
	s_add_u32 s16, s79, s16                                    // 000000004AD0: 8010104F
	s_addc_u32 s17, 0, s17                                     // 000000004AD4: 82111180
	s_waitcnt lgkmcnt(0)                                       // 000000004AD8: BF8CC07F
	s_barrier                                                  // 000000004ADC: BF8A0000
	v_mov_b32_e32 v108, 0                                      // 000000004AE0: 7ED80280
	v_mov_b32_e32 v140, 0                                      // 000000004AE4: 7F180280
	v_mov_b32_e32 v109, 0                                      // 000000004AE8: 7EDA0280
	v_mov_b32_e32 v141, 0                                      // 000000004AEC: 7F1A0280
	v_mov_b32_e32 v110, 0                                      // 000000004AF0: 7EDC0280
	v_mov_b32_e32 v142, 0                                      // 000000004AF4: 7F1C0280
	v_mov_b32_e32 v111, 0                                      // 000000004AF8: 7EDE0280
	v_mov_b32_e32 v143, 0                                      // 000000004AFC: 7F1E0280
	v_mov_b32_e32 v112, 0                                      // 000000004B00: 7EE00280
	v_mov_b32_e32 v144, 0                                      // 000000004B04: 7F200280
	v_mov_b32_e32 v113, 0                                      // 000000004B08: 7EE20280
	v_mov_b32_e32 v145, 0                                      // 000000004B0C: 7F220280
	v_mov_b32_e32 v114, 0                                      // 000000004B10: 7EE40280
	v_mov_b32_e32 v146, 0                                      // 000000004B14: 7F240280
	v_mov_b32_e32 v115, 0                                      // 000000004B18: 7EE60280
	v_mov_b32_e32 v147, 0                                      // 000000004B1C: 7F260280
	v_mov_b32_e32 v116, 0                                      // 000000004B20: 7EE80280
	v_mov_b32_e32 v148, 0                                      // 000000004B24: 7F280280
	v_mov_b32_e32 v117, 0                                      // 000000004B28: 7EEA0280
	v_mov_b32_e32 v149, 0                                      // 000000004B2C: 7F2A0280
	v_mov_b32_e32 v118, 0                                      // 000000004B30: 7EEC0280
	v_mov_b32_e32 v150, 0                                      // 000000004B34: 7F2C0280
	v_mov_b32_e32 v119, 0                                      // 000000004B38: 7EEE0280
	v_mov_b32_e32 v151, 0                                      // 000000004B3C: 7F2E0280
	v_mov_b32_e32 v120, 0                                      // 000000004B40: 7EF00280
	v_mov_b32_e32 v152, 0                                      // 000000004B44: 7F300280
	v_mov_b32_e32 v121, 0                                      // 000000004B48: 7EF20280
	v_mov_b32_e32 v153, 0                                      // 000000004B4C: 7F320280
	v_mov_b32_e32 v122, 0                                      // 000000004B50: 7EF40280
	v_mov_b32_e32 v154, 0                                      // 000000004B54: 7F340280
	v_mov_b32_e32 v123, 0                                      // 000000004B58: 7EF60280
	v_mov_b32_e32 v155, 0                                      // 000000004B5C: 7F360280
	ds_write_b64 v8, v[108:109]                                // 000000004B60: D89A0000 00006C08
	ds_write_b64 v8, v[110:111] offset:8704                    // 000000004B68: D89A2200 00006E08
	ds_write_b64 v8, v[112:113] offset:544                     // 000000004B70: D89A0220 00007008
	ds_write_b64 v8, v[114:115] offset:9248                    // 000000004B78: D89A2420 00007208
	ds_write_b64 v8, v[116:117] offset:4352                    // 000000004B80: D89A1100 00007408
	ds_write_b64 v8, v[118:119] offset:13056                   // 000000004B88: D89A3300 00007608
	ds_write_b64 v8, v[120:121] offset:4896                    // 000000004B90: D89A1320 00007808
	ds_write_b64 v8, v[122:123] offset:13600                   // 000000004B98: D89A3520 00007A08
	s_mov_b32 s80, 0                                           // 000000004BA0: BED00080
	s_waitcnt vmcnt(0) expcnt(0) lgkmcnt(0)                    // 000000004BA4: BF8C0000

0000000000004ba8 <label_076A>:
	s_waitcnt vmcnt(22) lgkmcnt(0)                             // 000000004BA8: BF8C4076
	s_barrier                                                  // 000000004BAC: BF8A0000
	v_mfma_scale_f32_16x16x128_f8f6f4 v[108:111], a[0:3], v[44:47], 0, v21, v31 op_sel_hi:[0,0,0] cbsz:4 blgp:4// 000000004BB0: D3AC6000 00023F15 D3AD0C6C 8A025900
	ds_read_b32 v76, v9                                        // 000000004BC0: D86C0000 4C000009
	ds_read_b32 v77, v9 offset:4352                            // 000000004BC8: D86C1100 4D000009
	ds_read_b32 v78, v9 offset:8                               // 000000004BD0: D86C0008 4E000009
	ds_read_b32 v79, v9 offset:4360                            // 000000004BD8: D86C1108 4F000009
	v_mfma_scale_f32_16x16x128_f8f6f4 v[112:115], a[0:3], v[52:55], 0, v21, v31 op_sel_hi:[0,0,0] cbsz:4 blgp:4// 000000004BE0: D3AC1000 00023F15 D3AD0C70 8A026900
	buffer_load_dwordx4 a[32:35], v40, s[12:15], 0 offen       // 000000004BF0: E05C1000 80832028
	v_mfma_scale_f32_16x16x128_f8f6f4 v[116:119], a[4:7], v[44:47], 0, v21, v31 op_sel_hi:[0,0,0] cbsz:4 blgp:4// 000000004BF8: D3AC6800 00023F15 D3AD0C74 8A025904
	ds_read_b32 v80, v9 offset:32                              // 000000004C08: D86C0020 50000009
	ds_read_b32 v81, v9 offset:4384                            // 000000004C10: D86C1120 51000009
	ds_read_b32 v82, v9 offset:40                              // 000000004C18: D86C0028 52000009
	ds_read_b32 v83, v9 offset:4392                            // 000000004C20: D86C1128 53000009
	v_mfma_scale_f32_16x16x128_f8f6f4 v[120:123], a[4:7], v[52:55], 0, v21, v31 op_sel_hi:[0,0,0] cbsz:4 blgp:4// 000000004C28: D3AC7800 00023F15 D3AD0C78 8A026904
	buffer_load_dwordx4 a[36:39], v41, s[12:15], 0 offen       // 000000004C38: E05C1000 80832429
	buffer_load_dword v23, v10, s[16:19], 0 offen              // 000000004C40: E0501000 8004170A
	buffer_load_dword v24, v11, s[16:19], 0 offen              // 000000004C48: E0501000 8004180B
	s_waitcnt vmcnt(24)                                        // 000000004C50: BF8C4F78
	v_mfma_scale_f32_16x16x128_f8f6f4 v[124:127], a[8:11], v[44:47], 0, v22, v31 op_sel_hi:[0,0,0] cbsz:4 blgp:4// 000000004C54: D3AC6000 00023F16 D3AD0C7C 8A025908
	ds_read_b32 v84, v9 offset:8704                            // 000000004C64: D86C2200 54000009
	ds_read_b32 v85, v9 offset:13056                           // 000000004C6C: D86C3300 55000009
	ds_read_b32 v86, v9 offset:8712                            // 000000004C74: D86C2208 56000009
	ds_read_b32 v87, v9 offset:13064                           // 000000004C7C: D86C3308 57000009
	v_mfma_scale_f32_16x16x128_f8f6f4 v[128:131], a[8:11], v[52:55], 0, v22, v31 op_sel_hi:[0,0,0] cbsz:4 blgp:4// 000000004C84: D3AC7000 00023F16 D3AD0C80 8A026908
	buffer_load_dwordx4 a[40:43], v42, s[12:15], 0 offen       // 000000004C94: E05C1000 8083282A
	v_mfma_scale_f32_16x16x128_f8f6f4 v[132:135], a[12:15], v[44:47], 0, v22, v31 op_sel_hi:[0,0,0] cbsz:4 blgp:4// 000000004C9C: D3AC6800 00023F16 D3AD0C84 8A02590C
	ds_read_b32 v88, v9 offset:8736                            // 000000004CAC: D86C2220 58000009
	ds_read_b32 v89, v9 offset:13088                           // 000000004CB4: D86C3320 59000009
	ds_read_b32 v90, v9 offset:8744                            // 000000004CBC: D86C2228 5A000009
	ds_read_b32 v91, v9 offset:13096                           // 000000004CC4: D86C3328 5B000009
	v_mfma_scale_f32_16x16x128_f8f6f4 v[136:139], a[12:15], v[52:55], 0, v22, v31 op_sel_hi:[0,0,0] cbsz:4 blgp:4// 000000004CCC: D3AC7800 00023F16 D3AD0C88 8A02690C
	buffer_load_dwordx4 a[44:47], v43, s[12:15], 0 offen       // 000000004CDC: E05C1000 80832C2B
	s_waitcnt vmcnt(24)                                        // 000000004CE4: BF8C4F78
	v_mfma_scale_f32_16x16x128_f8f6f4 v[108:111], a[16:19], v[48:51], v[108:111], v21, v31 op_sel_hi:[0,0,0] cbsz:4 blgp:4// 000000004CE8: D3AC6000 18023F15 D3AD0C6C 8DB26110
	ds_write_b64 v8, v[140:141] offset:17408                   // 000000004CF8: D89A4400 00008C08
	ds_write_b64 v8, v[142:143] offset:26112                   // 000000004D00: D89A6600 00008E08
	v_mfma_scale_f32_16x16x128_f8f6f4 v[112:115], a[16:19], v[56:59], v[112:115], v21, v31 op_sel_hi:[0,0,0] cbsz:4 blgp:4// 000000004D08: D3AC7000 18023F15 D3AD0C70 8DC27110
	buffer_load_dwordx4 a[48:51], v40, s[12:15], 0 offen offset:1024// 000000004D18: E05C1400 80833028
	v_mfma_scale_f32_16x16x128_f8f6f4 v[116:119], a[20:23], v[48:51], v[116:119], v21, v31 op_sel_hi:[0,0,0] cbsz:4 blgp:4// 000000004D20: D3AC6800 18023F15 D3AD0C74 8DD26114
	ds_write_b64 v8, v[144:145] offset:17952                   // 000000004D30: D89A4620 00009008
	ds_write_b64 v8, v[146:147] offset:26656                   // 000000004D38: D89A6820 00009208
	v_mfma_scale_f32_16x16x128_f8f6f4 v[120:123], a[20:23], v[56:59], v[120:123], v21, v31 op_sel_hi:[0,0,0] cbsz:4 blgp:4// 000000004D40: D3AC7800 18023F15 D3AD0C78 8DE27114
	buffer_load_dwordx4 a[52:55], v41, s[12:15], 0 offen offset:1024// 000000004D50: E05C1400 80833429
	s_waitcnt vmcnt(24)                                        // 000000004D58: BF8C4F78
	v_mfma_scale_f32_16x16x128_f8f6f4 v[124:127], a[24:27], v[48:51], v[124:127], v22, v31 op_sel_hi:[0,0,0] cbsz:4 blgp:4// 000000004D5C: D3AC6000 18023F16 D3AD0C7C 8DF26118
	ds_write_b64 v8, v[148:149] offset:21760                   // 000000004D6C: D89A5500 00009408
	ds_write_b64 v8, v[150:151] offset:30464                   // 000000004D74: D89A7700 00009608
	v_mfma_scale_f32_16x16x128_f8f6f4 v[128:131], a[24:27], v[56:59], v[128:131], v22, v31 op_sel_hi:[0,0,0] cbsz:4 blgp:4// 000000004D7C: D3AC7000 18023F16 D3AD0C80 8E027118
	buffer_load_dwordx4 a[56:59], v42, s[12:15], 0 offen offset:1024// 000000004D8C: E05C1400 8083382A
	v_mfma_scale_f32_16x16x128_f8f6f4 v[132:135], a[28:31], v[48:51], v[132:135], v22, v31 op_sel_hi:[0,0,0] cbsz:4 blgp:4// 000000004D94: D3AC6800 18023F16 D3AD0C84 8E12611C
	ds_write_b64 v8, v[152:153] offset:22304                   // 000000004DA4: D89A5720 00009808
	ds_write_b64 v8, v[154:155] offset:31008                   // 000000004DAC: D89A7920 00009A08
	v_mfma_scale_f32_16x16x128_f8f6f4 v[136:139], a[28:31], v[56:59], v[136:139], v22, v31 op_sel_hi:[0,0,0] cbsz:4 blgp:4// 000000004DB4: D3AC7800 18023F16 D3AD0C88 8E22711C
	buffer_load_dwordx4 a[60:63], v43, s[12:15], 0 offen offset:1024// 000000004DC4: E05C1400 80833C2B
	s_add_u32 s60, 0x200, s80                                  // 000000004DCC: 803C50FF 00000200
	s_cmp_lt_u32 s60, s81                                      // 000000004DD4: BF0A513C
	s_cselect_b32 s56, s56, 0                                  // 000000004DD8: 85388038
	s_cselect_b32 s78, s78, 0                                  // 000000004DDC: 854E804E
	s_cselect_b32 s79, s79, 0                                  // 000000004DE0: 854F804F
	s_add_u32 s12, s56, s12                                    // 000000004DE4: 800C0C38
	s_addc_u32 s13, 0, s13                                     // 000000004DE8: 820D0D80
	s_add_u32 s16, s79, s16                                    // 000000004DEC: 8010104F
	s_addc_u32 s17, 0, s17                                     // 000000004DF0: 82111180
	v_mov_b32_e32 v2, v29                                      // 000000004DF4: 7E04031D
	v_mov_b32_e32 v3, v29                                      // 000000004DF8: 7E06031D
	v_pk_mul_f32 v[108:109], v[2:3], v[108:109]                // 000000004DFC: D3B1406C 1802D902
	v_pk_mul_f32 v[110:111], v[2:3], v[110:111]                // 000000004E04: D3B1406E 1802DD02
	v_pk_mul_f32 v[116:117], v[2:3], v[116:117]                // 000000004E0C: D3B14074 1802E902
	v_pk_mul_f32 v[118:119], v[2:3], v[118:119]                // 000000004E14: D3B14076 1802ED02
	v_pk_mul_f32 v[124:125], v[2:3], v[124:125]                // 000000004E1C: D3B1407C 1802F902
	v_pk_mul_f32 v[126:127], v[2:3], v[126:127]                // 000000004E24: D3B1407E 1802FD02
	v_pk_mul_f32 v[132:133], v[2:3], v[132:133]                // 000000004E2C: D3B14084 18030902
	v_pk_mul_f32 v[134:135], v[2:3], v[134:135]                // 000000004E34: D3B14086 18030D02
	v_mov_b32_e32 v2, v30                                      // 000000004E3C: 7E04031E
	v_mov_b32_e32 v3, v30                                      // 000000004E40: 7E06031E
	v_pk_mul_f32 v[112:113], v[2:3], v[112:113]                // 000000004E44: D3B14070 1802E102
	v_pk_mul_f32 v[114:115], v[2:3], v[114:115]                // 000000004E4C: D3B14072 1802E502
	v_pk_mul_f32 v[120:121], v[2:3], v[120:121]                // 000000004E54: D3B14078 1802F102
	v_pk_mul_f32 v[122:123], v[2:3], v[122:123]                // 000000004E5C: D3B1407A 1802F502
	v_pk_mul_f32 v[128:129], v[2:3], v[128:129]                // 000000004E64: D3B14080 18030102
	v_pk_mul_f32 v[130:131], v[2:3], v[130:131]                // 000000004E6C: D3B14082 18030502
	v_pk_mul_f32 v[136:137], v[2:3], v[136:137]                // 000000004E74: D3B14088 18031102
	v_pk_mul_f32 v[138:139], v[2:3], v[138:139]                // 000000004E7C: D3B1408A 18031502
	v_cvt_pkrtz_f16_f32 v108, v108, v109                       // 000000004E84: D296006C 0002DB6C
	v_cvt_pkrtz_f16_f32 v109, v110, v111                       // 000000004E8C: D296006D 0002DF6E
	v_cvt_pkrtz_f16_f32 v110, v112, v113                       // 000000004E94: D296006E 0002E370
	v_cvt_pkrtz_f16_f32 v111, v114, v115                       // 000000004E9C: D296006F 0002E772
	v_cvt_pkrtz_f16_f32 v112, v116, v117                       // 000000004EA4: D2960070 0002EB74
	v_cvt_pkrtz_f16_f32 v113, v118, v119                       // 000000004EAC: D2960071 0002EF76
	v_cvt_pkrtz_f16_f32 v114, v120, v121                       // 000000004EB4: D2960072 0002F378
	v_cvt_pkrtz_f16_f32 v115, v122, v123                       // 000000004EBC: D2960073 0002F77A
	v_cvt_pkrtz_f16_f32 v116, v124, v125                       // 000000004EC4: D2960074 0002FB7C
	v_cvt_pkrtz_f16_f32 v117, v126, v127                       // 000000004ECC: D2960075 0002FF7E
	v_cvt_pkrtz_f16_f32 v118, v128, v129                       // 000000004ED4: D2960076 00030380
	v_cvt_pkrtz_f16_f32 v119, v130, v131                       // 000000004EDC: D2960077 00030782
	v_cvt_pkrtz_f16_f32 v120, v132, v133                       // 000000004EE4: D2960078 00030B84
	v_cvt_pkrtz_f16_f32 v121, v134, v135                       // 000000004EEC: D2960079 00030F86
	v_cvt_pkrtz_f16_f32 v122, v136, v137                       // 000000004EF4: D296007A 00031388
	v_cvt_pkrtz_f16_f32 v123, v138, v139                       // 000000004EFC: D296007B 0003178A
	s_cmp_ge_u32 s80, 0x200                                    // 000000004F04: BF09FF50 00000200
	s_cselect_b32 s59, 0x200, s59                              // 000000004F0C: 853B3BFF 00000200
	s_mov_b64 exec, s[20:21]                                   // 000000004F14: BEFE0114
	global_atomic_pk_add_f16 v92, v76, s[8:9]                  // 000000004F18: DD388000 00084C5C
	s_mov_b64 exec, s[36:37]                                   // 000000004F20: BEFE0124
	s_mov_b64 exec, s[20:21]                                   // 000000004F24: BEFE0114
	global_atomic_pk_add_f16 v92, v77, s[8:9] offset:256       // 000000004F28: DD388100 00084D5C
	s_mov_b64 exec, s[36:37]                                   // 000000004F30: BEFE0124
	s_mov_b64 exec, s[22:23]                                   // 000000004F34: BEFE0116
	global_atomic_pk_add_f16 v94, v78, s[8:9]                  // 000000004F38: DD388000 00084E5E
	s_mov_b64 exec, s[36:37]                                   // 000000004F40: BEFE0124
	s_mov_b64 exec, s[22:23]                                   // 000000004F44: BEFE0116
	global_atomic_pk_add_f16 v94, v79, s[8:9] offset:256       // 000000004F48: DD388100 00084F5E
	s_mov_b64 exec, s[36:37]                                   // 000000004F50: BEFE0124
	s_mov_b64 exec, s[24:25]                                   // 000000004F54: BEFE0118
	global_atomic_pk_add_f16 v96, v80, s[8:9]                  // 000000004F58: DD388000 00085060
	s_mov_b64 exec, s[36:37]                                   // 000000004F60: BEFE0124
	s_mov_b64 exec, s[24:25]                                   // 000000004F64: BEFE0118
	global_atomic_pk_add_f16 v96, v81, s[8:9] offset:256       // 000000004F68: DD388100 00085160
	s_mov_b64 exec, s[36:37]                                   // 000000004F70: BEFE0124
	s_mov_b64 exec, s[26:27]                                   // 000000004F74: BEFE011A
	global_atomic_pk_add_f16 v98, v82, s[8:9]                  // 000000004F78: DD388000 00085262
	s_mov_b64 exec, s[36:37]                                   // 000000004F80: BEFE0124
	s_mov_b64 exec, s[26:27]                                   // 000000004F84: BEFE011A
	global_atomic_pk_add_f16 v98, v83, s[8:9] offset:256       // 000000004F88: DD388100 00085362
	s_mov_b64 exec, s[36:37]                                   // 000000004F90: BEFE0124
	s_mov_b64 exec, s[28:29]                                   // 000000004F94: BEFE011C
	global_atomic_pk_add_f16 v100, v84, s[8:9]                 // 000000004F98: DD388000 00085464
	s_mov_b64 exec, s[36:37]                                   // 000000004FA0: BEFE0124
	s_mov_b64 exec, s[28:29]                                   // 000000004FA4: BEFE011C
	global_atomic_pk_add_f16 v100, v85, s[8:9] offset:256      // 000000004FA8: DD388100 00085564
	s_mov_b64 exec, s[36:37]                                   // 000000004FB0: BEFE0124
	s_mov_b64 exec, s[30:31]                                   // 000000004FB4: BEFE011E
	global_atomic_pk_add_f16 v102, v86, s[8:9]                 // 000000004FB8: DD388000 00085666
	s_mov_b64 exec, s[36:37]                                   // 000000004FC0: BEFE0124
	s_mov_b64 exec, s[30:31]                                   // 000000004FC4: BEFE011E
	global_atomic_pk_add_f16 v102, v87, s[8:9] offset:256      // 000000004FC8: DD388100 00085766
	s_mov_b64 exec, s[36:37]                                   // 000000004FD0: BEFE0124
	s_mov_b64 exec, s[32:33]                                   // 000000004FD4: BEFE0120
	global_atomic_pk_add_f16 v104, v88, s[8:9]                 // 000000004FD8: DD388000 00085868
	s_mov_b64 exec, s[36:37]                                   // 000000004FE0: BEFE0124
	s_mov_b64 exec, s[32:33]                                   // 000000004FE4: BEFE0120
	global_atomic_pk_add_f16 v104, v89, s[8:9] offset:256      // 000000004FE8: DD388100 00085968
	s_mov_b64 exec, s[36:37]                                   // 000000004FF0: BEFE0124
	s_mov_b64 exec, s[34:35]                                   // 000000004FF4: BEFE0122
	global_atomic_pk_add_f16 v106, v90, s[8:9]                 // 000000004FF8: DD388000 00085A6A
	s_mov_b64 exec, s[36:37]                                   // 000000005000: BEFE0124
	s_mov_b64 exec, s[34:35]                                   // 000000005004: BEFE0122
	global_atomic_pk_add_f16 v106, v91, s[8:9] offset:256      // 000000005008: DD388100 00085B6A
	s_mov_b64 exec, s[36:37]                                   // 000000005010: BEFE0124
	s_add_u32 s8, s59, s8                                      // 000000005014: 8008083B
	s_addc_u32 s9, 0, s9                                       // 000000005018: 82090980
	s_addk_i32 s80, 0x100                                      // 00000000501C: B7500100
	s_cmp_lt_i32 s80, s81                                      // 000000005020: BF045150
	s_cbranch_scc0 label_09AB                                  // 000000005024: BF840121
	s_waitcnt vmcnt(22) lgkmcnt(0)                             // 000000005028: BF8C4076
	s_barrier                                                  // 00000000502C: BF8A0000
	v_mfma_scale_f32_16x16x128_f8f6f4 v[140:143], a[32:35], v[44:47], 0, v23, v31 op_sel_hi:[0,0,0] cbsz:4 blgp:4// 000000005030: D3AC6000 00023F17 D3AD0C8C 8A025920
	ds_read_b32 v76, v9 offset:17408                           // 000000005040: D86C4400 4C000009
	ds_read_b32 v77, v9 offset:21760                           // 000000005048: D86C5500 4D000009
	ds_read_b32 v78, v9 offset:17416                           // 000000005050: D86C4408 4E000009
	ds_read_b32 v79, v9 offset:21768                           // 000000005058: D86C5508 4F000009
	v_mfma_scale_f32_16x16x128_f8f6f4 v[144:147], a[32:35], v[52:55], 0, v23, v31 op_sel_hi:[0,0,0] cbsz:4 blgp:4// 000000005060: D3AC7000 00023F17 D3AD0C90 8A026920
	buffer_load_dwordx4 a[0:3], v40, s[12:15], 0 offen         // 000000005070: E05C1000 80830028
	v_mfma_scale_f32_16x16x128_f8f6f4 v[148:151], a[36:39], v[44:47], 0, v23, v31 op_sel_hi:[0,0,0] cbsz:4 blgp:4// 000000005078: D3AC6800 00023F17 D3AD0C94 8A025924
	ds_read_b32 v80, v9 offset:17440                           // 000000005088: D86C4420 50000009
	ds_read_b32 v81, v9 offset:21792                           // 000000005090: D86C5520 51000009
	ds_read_b32 v82, v9 offset:17448                           // 000000005098: D86C4428 52000009
	ds_read_b32 v83, v9 offset:21800                           // 0000000050A0: D86C5528 53000009
	v_mfma_scale_f32_16x16x128_f8f6f4 v[152:155], a[36:39], v[52:55], 0, v23, v31 op_sel_hi:[0,0,0] cbsz:4 blgp:4// 0000000050A8: D3AC7800 00023F17 D3AD0C98 8A026924
	buffer_load_dwordx4 a[4:7], v41, s[12:15], 0 offen         // 0000000050B8: E05C1000 80830429
	buffer_load_dword v21, v10, s[16:19], 0 offen              // 0000000050C0: E0501000 8004150A
	buffer_load_dword v22, v11, s[16:19], 0 offen              // 0000000050C8: E0501000 8004160B
	s_waitcnt vmcnt(24)                                        // 0000000050D0: BF8C4F78
	v_mfma_scale_f32_16x16x128_f8f6f4 v[156:159], a[40:43], v[44:47], 0, v24, v31 op_sel_hi:[0,0,0] cbsz:4 blgp:4// 0000000050D4: D3AC6000 00023F18 D3AD0C9C 8A025928
	ds_read_b32 v84, v9 offset:26112                           // 0000000050E4: D86C6600 54000009
	ds_read_b32 v85, v9 offset:30464                           // 0000000050EC: D86C7700 55000009
	ds_read_b32 v86, v9 offset:26120                           // 0000000050F4: D86C6608 56000009
	ds_read_b32 v87, v9 offset:30472                           // 0000000050FC: D86C7708 57000009
	v_mfma_scale_f32_16x16x128_f8f6f4 v[160:163], a[40:43], v[52:55], 0, v24, v31 op_sel_hi:[0,0,0] cbsz:4 blgp:4// 000000005104: D3AC7000 00023F18 D3AD0CA0 8A026928
	buffer_load_dwordx4 a[8:11], v42, s[12:15], 0 offen        // 000000005114: E05C1000 8083082A
	v_mfma_scale_f32_16x16x128_f8f6f4 v[164:167], a[44:47], v[44:47], 0, v24, v31 op_sel_hi:[0,0,0] cbsz:4 blgp:4// 00000000511C: D3AC6800 00023F18 D3AD0CA4 8A02592C
	ds_read_b32 v88, v9 offset:26144                           // 00000000512C: D86C6620 58000009
	ds_read_b32 v89, v9 offset:30496                           // 000000005134: D86C7720 59000009
	ds_read_b32 v90, v9 offset:26152                           // 00000000513C: D86C6628 5A000009
	ds_read_b32 v91, v9 offset:30504                           // 000000005144: D86C7728 5B000009
	v_mfma_scale_f32_16x16x128_f8f6f4 v[168:171], a[44:47], v[52:55], 0, v24, v31 op_sel_hi:[0,0,0] cbsz:4 blgp:4// 00000000514C: D3AC7800 00023F18 D3AD0CA8 8A02692C
	buffer_load_dwordx4 a[12:15], v43, s[12:15], 0 offen       // 00000000515C: E05C1000 80830C2B
	s_waitcnt vmcnt(24)                                        // 000000005164: BF8C4F78
	v_mfma_scale_f32_16x16x128_f8f6f4 v[140:143], a[48:51], v[48:51], v[140:143], v23, v31 op_sel_hi:[0,0,0] cbsz:4 blgp:4// 000000005168: D3AC6000 18023F17 D3AD0C8C 8E326130
	ds_write_b64 v8, v[108:109]                                // 000000005178: D89A0000 00006C08
	ds_write_b64 v8, v[110:111] offset:8704                    // 000000005180: D89A2200 00006E08
	v_mfma_scale_f32_16x16x128_f8f6f4 v[144:147], a[48:51], v[56:59], v[144:147], v23, v31 op_sel_hi:[0,0,0] cbsz:4 blgp:4// 000000005188: D3AC7000 18023F17 D3AD0C90 8E427130
	buffer_load_dwordx4 a[16:19], v40, s[12:15], 0 offen offset:1024// 000000005198: E05C1400 80831028
	v_mfma_scale_f32_16x16x128_f8f6f4 v[148:151], a[52:55], v[48:51], v[148:151], v23, v31 op_sel_hi:[0,0,0] cbsz:4 blgp:4// 0000000051A0: D3AC6800 18023F17 D3AD0C94 8E526134
	ds_write_b64 v8, v[112:113] offset:544                     // 0000000051B0: D89A0220 00007008
	ds_write_b64 v8, v[114:115] offset:9248                    // 0000000051B8: D89A2420 00007208
	v_mfma_scale_f32_16x16x128_f8f6f4 v[152:155], a[52:55], v[56:59], v[152:155], v23, v31 op_sel_hi:[0,0,0] cbsz:4 blgp:4// 0000000051C0: D3AC7800 18023F17 D3AD0C98 8E627134
	buffer_load_dwordx4 a[20:23], v41, s[12:15], 0 offen offset:1024// 0000000051D0: E05C1400 80831429
	s_waitcnt vmcnt(24)                                        // 0000000051D8: BF8C4F78
	v_mfma_scale_f32_16x16x128_f8f6f4 v[156:159], a[56:59], v[48:51], v[156:159], v24, v31 op_sel_hi:[0,0,0] cbsz:4 blgp:4// 0000000051DC: D3AC6000 18023F18 D3AD0C9C 8E726138
	ds_write_b64 v8, v[116:117] offset:4352                    // 0000000051EC: D89A1100 00007408
	ds_write_b64 v8, v[118:119] offset:13056                   // 0000000051F4: D89A3300 00007608
	v_mfma_scale_f32_16x16x128_f8f6f4 v[160:163], a[56:59], v[56:59], v[160:163], v24, v31 op_sel_hi:[0,0,0] cbsz:4 blgp:4// 0000000051FC: D3AC7000 18023F18 D3AD0CA0 8E827138
	buffer_load_dwordx4 a[24:27], v42, s[12:15], 0 offen offset:1024// 00000000520C: E05C1400 8083182A
	v_mfma_scale_f32_16x16x128_f8f6f4 v[164:167], a[60:63], v[48:51], v[164:167], v24, v31 op_sel_hi:[0,0,0] cbsz:4 blgp:4// 000000005214: D3AC6800 18023F18 D3AD0CA4 8E92613C
	ds_write_b64 v8, v[120:121] offset:4896                    // 000000005224: D89A1320 00007808
	ds_write_b64 v8, v[122:123] offset:13600                   // 00000000522C: D89A3520 00007A08
	v_mfma_scale_f32_16x16x128_f8f6f4 v[168:171], a[60:63], v[56:59], v[168:171], v24, v31 op_sel_hi:[0,0,0] cbsz:4 blgp:4// 000000005234: D3AC7800 18023F18 D3AD0CA8 8EA2713C
	buffer_load_dwordx4 a[28:31], v43, s[12:15], 0 offen offset:1024// 000000005244: E05C1400 80831C2B
	s_add_u32 s60, 0x200, s80                                  // 00000000524C: 803C50FF 00000200
	s_cmp_lt_u32 s60, s81                                      // 000000005254: BF0A513C
	s_cselect_b32 s56, s56, 0                                  // 000000005258: 85388038
	s_cselect_b32 s78, s78, 0                                  // 00000000525C: 854E804E
	s_cselect_b32 s79, s79, 0                                  // 000000005260: 854F804F
	s_add_u32 s12, s56, s12                                    // 000000005264: 800C0C38
	s_addc_u32 s13, 0, s13                                     // 000000005268: 820D0D80
	s_add_u32 s16, s79, s16                                    // 00000000526C: 8010104F
	s_addc_u32 s17, 0, s17                                     // 000000005270: 82111180
	v_mov_b32_e32 v2, v29                                      // 000000005274: 7E04031D
	v_mov_b32_e32 v3, v29                                      // 000000005278: 7E06031D
	v_pk_mul_f32 v[140:141], v[2:3], v[140:141]                // 00000000527C: D3B1408C 18031902
	v_pk_mul_f32 v[142:143], v[2:3], v[142:143]                // 000000005284: D3B1408E 18031D02
	v_pk_mul_f32 v[148:149], v[2:3], v[148:149]                // 00000000528C: D3B14094 18032902
	v_pk_mul_f32 v[150:151], v[2:3], v[150:151]                // 000000005294: D3B14096 18032D02
	v_pk_mul_f32 v[156:157], v[2:3], v[156:157]                // 00000000529C: D3B1409C 18033902
	v_pk_mul_f32 v[158:159], v[2:3], v[158:159]                // 0000000052A4: D3B1409E 18033D02
	v_pk_mul_f32 v[164:165], v[2:3], v[164:165]                // 0000000052AC: D3B140A4 18034902
	v_pk_mul_f32 v[166:167], v[2:3], v[166:167]                // 0000000052B4: D3B140A6 18034D02
	v_mov_b32_e32 v2, v30                                      // 0000000052BC: 7E04031E
	v_mov_b32_e32 v3, v30                                      // 0000000052C0: 7E06031E
	v_pk_mul_f32 v[144:145], v[2:3], v[144:145]                // 0000000052C4: D3B14090 18032102
	v_pk_mul_f32 v[146:147], v[2:3], v[146:147]                // 0000000052CC: D3B14092 18032502
	v_pk_mul_f32 v[152:153], v[2:3], v[152:153]                // 0000000052D4: D3B14098 18033102
	v_pk_mul_f32 v[154:155], v[2:3], v[154:155]                // 0000000052DC: D3B1409A 18033502
	v_pk_mul_f32 v[160:161], v[2:3], v[160:161]                // 0000000052E4: D3B140A0 18034102
	v_pk_mul_f32 v[162:163], v[2:3], v[162:163]                // 0000000052EC: D3B140A2 18034502
	v_pk_mul_f32 v[168:169], v[2:3], v[168:169]                // 0000000052F4: D3B140A8 18035102
	v_pk_mul_f32 v[170:171], v[2:3], v[170:171]                // 0000000052FC: D3B140AA 18035502
	v_cvt_pkrtz_f16_f32 v140, v140, v141                       // 000000005304: D296008C 00031B8C
	v_cvt_pkrtz_f16_f32 v141, v142, v143                       // 00000000530C: D296008D 00031F8E
	v_cvt_pkrtz_f16_f32 v142, v144, v145                       // 000000005314: D296008E 00032390
	v_cvt_pkrtz_f16_f32 v143, v146, v147                       // 00000000531C: D296008F 00032792
	v_cvt_pkrtz_f16_f32 v144, v148, v149                       // 000000005324: D2960090 00032B94
	v_cvt_pkrtz_f16_f32 v145, v150, v151                       // 00000000532C: D2960091 00032F96
	v_cvt_pkrtz_f16_f32 v146, v152, v153                       // 000000005334: D2960092 00033398
	v_cvt_pkrtz_f16_f32 v147, v154, v155                       // 00000000533C: D2960093 0003379A
	v_cvt_pkrtz_f16_f32 v148, v156, v157                       // 000000005344: D2960094 00033B9C
	v_cvt_pkrtz_f16_f32 v149, v158, v159                       // 00000000534C: D2960095 00033F9E
	v_cvt_pkrtz_f16_f32 v150, v160, v161                       // 000000005354: D2960096 000343A0
	v_cvt_pkrtz_f16_f32 v151, v162, v163                       // 00000000535C: D2960097 000347A2
	v_cvt_pkrtz_f16_f32 v152, v164, v165                       // 000000005364: D2960098 00034BA4
	v_cvt_pkrtz_f16_f32 v153, v166, v167                       // 00000000536C: D2960099 00034FA6
	v_cvt_pkrtz_f16_f32 v154, v168, v169                       // 000000005374: D296009A 000353A8
	v_cvt_pkrtz_f16_f32 v155, v170, v171                       // 00000000537C: D296009B 000357AA
	s_cmp_ge_u32 s80, 0x200                                    // 000000005384: BF09FF50 00000200
	s_cselect_b32 s59, 0x200, s59                              // 00000000538C: 853B3BFF 00000200
	s_mov_b64 exec, s[20:21]                                   // 000000005394: BEFE0114
	global_atomic_pk_add_f16 v92, v76, s[8:9]                  // 000000005398: DD388000 00084C5C
	s_mov_b64 exec, s[36:37]                                   // 0000000053A0: BEFE0124
	s_mov_b64 exec, s[20:21]                                   // 0000000053A4: BEFE0114
	global_atomic_pk_add_f16 v92, v77, s[8:9] offset:256       // 0000000053A8: DD388100 00084D5C
	s_mov_b64 exec, s[36:37]                                   // 0000000053B0: BEFE0124
	s_mov_b64 exec, s[22:23]                                   // 0000000053B4: BEFE0116
	global_atomic_pk_add_f16 v94, v78, s[8:9]                  // 0000000053B8: DD388000 00084E5E
	s_mov_b64 exec, s[36:37]                                   // 0000000053C0: BEFE0124
	s_mov_b64 exec, s[22:23]                                   // 0000000053C4: BEFE0116
	global_atomic_pk_add_f16 v94, v79, s[8:9] offset:256       // 0000000053C8: DD388100 00084F5E
	s_mov_b64 exec, s[36:37]                                   // 0000000053D0: BEFE0124
	s_mov_b64 exec, s[24:25]                                   // 0000000053D4: BEFE0118
	global_atomic_pk_add_f16 v96, v80, s[8:9]                  // 0000000053D8: DD388000 00085060
	s_mov_b64 exec, s[36:37]                                   // 0000000053E0: BEFE0124
	s_mov_b64 exec, s[24:25]                                   // 0000000053E4: BEFE0118
	global_atomic_pk_add_f16 v96, v81, s[8:9] offset:256       // 0000000053E8: DD388100 00085160
	s_mov_b64 exec, s[36:37]                                   // 0000000053F0: BEFE0124
	s_mov_b64 exec, s[26:27]                                   // 0000000053F4: BEFE011A
	global_atomic_pk_add_f16 v98, v82, s[8:9]                  // 0000000053F8: DD388000 00085262
	s_mov_b64 exec, s[36:37]                                   // 000000005400: BEFE0124
	s_mov_b64 exec, s[26:27]                                   // 000000005404: BEFE011A
	global_atomic_pk_add_f16 v98, v83, s[8:9] offset:256       // 000000005408: DD388100 00085362
	s_mov_b64 exec, s[36:37]                                   // 000000005410: BEFE0124
	s_mov_b64 exec, s[28:29]                                   // 000000005414: BEFE011C
	global_atomic_pk_add_f16 v100, v84, s[8:9]                 // 000000005418: DD388000 00085464
	s_mov_b64 exec, s[36:37]                                   // 000000005420: BEFE0124
	s_mov_b64 exec, s[28:29]                                   // 000000005424: BEFE011C
	global_atomic_pk_add_f16 v100, v85, s[8:9] offset:256      // 000000005428: DD388100 00085564
	s_mov_b64 exec, s[36:37]                                   // 000000005430: BEFE0124
	s_mov_b64 exec, s[30:31]                                   // 000000005434: BEFE011E
	global_atomic_pk_add_f16 v102, v86, s[8:9]                 // 000000005438: DD388000 00085666
	s_mov_b64 exec, s[36:37]                                   // 000000005440: BEFE0124
	s_mov_b64 exec, s[30:31]                                   // 000000005444: BEFE011E
	global_atomic_pk_add_f16 v102, v87, s[8:9] offset:256      // 000000005448: DD388100 00085766
	s_mov_b64 exec, s[36:37]                                   // 000000005450: BEFE0124
	s_mov_b64 exec, s[32:33]                                   // 000000005454: BEFE0120
	global_atomic_pk_add_f16 v104, v88, s[8:9]                 // 000000005458: DD388000 00085868
	s_mov_b64 exec, s[36:37]                                   // 000000005460: BEFE0124
	s_mov_b64 exec, s[32:33]                                   // 000000005464: BEFE0120
	global_atomic_pk_add_f16 v104, v89, s[8:9] offset:256      // 000000005468: DD388100 00085968
	s_mov_b64 exec, s[36:37]                                   // 000000005470: BEFE0124
	s_mov_b64 exec, s[34:35]                                   // 000000005474: BEFE0122
	global_atomic_pk_add_f16 v106, v90, s[8:9]                 // 000000005478: DD388000 00085A6A
	s_mov_b64 exec, s[36:37]                                   // 000000005480: BEFE0124
	s_mov_b64 exec, s[34:35]                                   // 000000005484: BEFE0122
	global_atomic_pk_add_f16 v106, v91, s[8:9] offset:256      // 000000005488: DD388100 00085B6A
	s_mov_b64 exec, s[36:37]                                   // 000000005490: BEFE0124
	s_add_u32 s8, s59, s8                                      // 000000005494: 8008083B
	s_addc_u32 s9, 0, s9                                       // 000000005498: 82090980
	s_addk_i32 s80, 0x100                                      // 00000000549C: B7500100
	s_cmp_lt_i32 s80, s81                                      // 0000000054A0: BF045150
	s_cbranch_scc0 label_09AB                                  // 0000000054A4: BF840001
	s_branch label_076A                                        // 0000000054A8: BF82FDBF

00000000000054ac <label_09AB>:
	s_nop 0                                                    // 0000000054AC: BF800000
	s_nop 0                                                    // 0000000054B0: BF800000
	s_branch label_1128                                        // 0000000054B4: BF82077A

00000000000054b8 <label_09AE>:
	s_waitcnt vmcnt(6) lgkmcnt(0)                              // 0000000054B8: BF8C0076
	s_barrier                                                  // 0000000054BC: BF8A0000
	v_mfma_scale_f32_16x16x128_f8f6f4 v[44:47], a[0:3], v[108:111], v[44:47], v21, v19 op_sel_hi:[0,0,0] cbsz:4 blgp:4// 0000000054C0: D3AC6000 00022715 D3AD0C2C 8CB2D900
	buffer_load_dwordx4 a[32:35], v36, s[92:95], 0 offen       // 0000000054D0: E05C1000 80972024
	buffer_load_dwordx4 v35, s[20:23], 0 offen lds             // 0000000054D8: E05D1000 80050023
	s_add_u32 m0, 0, s50                                       // 0000000054E0: 807C3280
	v_mfma_scale_f32_16x16x128_f8f6f4 v[60:63], a[0:3], v[116:119], v[60:63], v21, v19 op_sel_hi:[0,0,0] cbsz:4 blgp:4// 0000000054E4: D3AC7000 00022715 D3AD0C3C 8CF2E900
	v_mfma_scale_f32_16x16x128_f8f6f4 v[48:51], a[4:7], v[108:111], v[48:51], v21, v19 op_sel_hi:[0,0,0] cbsz:4 blgp:4// 0000000054F4: D3AC6800 00022715 D3AD0C30 8CC2D904
	buffer_load_dwordx4 a[36:39], v37, s[92:95], 0 offen       // 000000005504: E05C1000 80972425
	buffer_load_dword v20, v12, s[28:31], 0 offen              // 00000000550C: E0501000 8007140C
	buffer_load_dword v25, v17, s[32:35], 0 offen              // 000000005514: E0501000 80081911
	buffer_load_dword v26, v18, s[32:35], 0 offen              // 00000000551C: E0501000 80081A12
	v_mfma_scale_f32_16x16x128_f8f6f4 v[64:67], a[4:7], v[116:119], v[64:67], v21, v19 op_sel_hi:[0,0,0] cbsz:4 blgp:4// 000000005524: D3AC7800 00022715 D3AD0C40 8D02E904
	s_waitcnt vmcnt(10)                                        // 000000005534: BF8C0F7A
	v_mfma_scale_f32_16x16x128_f8f6f4 v[52:55], a[8:11], v[108:111], v[52:55], v22, v19 op_sel_hi:[0,0,0] cbsz:4 blgp:4// 000000005538: D3AC6000 00022716 D3AD0C34 8CD2D908
	buffer_load_dwordx4 a[40:43], v38, s[92:95], 0 offen       // 000000005548: E05C1000 80972826
	v_mfma_scale_f32_16x16x128_f8f6f4 v[68:71], a[8:11], v[116:119], v[68:71], v22, v19 op_sel_hi:[0,0,0] cbsz:4 blgp:4// 000000005550: D3AC7000 00022716 D3AD0C44 8D12E908
	v_mfma_scale_f32_16x16x128_f8f6f4 v[56:59], a[12:15], v[108:111], v[56:59], v22, v19 op_sel_hi:[0,0,0] cbsz:4 blgp:4// 000000005560: D3AC6800 00022716 D3AD0C38 8CE2D90C
	buffer_load_dwordx4 a[44:47], v39, s[92:95], 0 offen       // 000000005570: E05C1000 80972C27
	v_mfma_scale_f32_16x16x128_f8f6f4 v[72:75], a[12:15], v[116:119], v[72:75], v22, v19 op_sel_hi:[0,0,0] cbsz:4 blgp:4// 000000005578: D3AC7800 00022716 D3AD0C48 8D22E90C
	s_nop 0                                                    // 000000005588: BF800000
	s_waitcnt vmcnt(10)                                        // 00000000558C: BF8C0F7A
	v_mfma_scale_f32_16x16x128_f8f6f4 v[44:47], a[16:19], v[112:115], v[44:47], v21, v19 op_sel_hi:[0,0,0] cbsz:4 blgp:4// 000000005590: D3AC6000 18022715 D3AD0C2C 8CB2E110
	buffer_load_dwordx4 a[48:51], v36, s[92:95], 0 offen offset:1024// 0000000055A0: E05C1400 80973024
	v_mfma_scale_f32_16x16x128_f8f6f4 v[60:63], a[16:19], v[120:123], v[60:63], v21, v19 op_sel_hi:[0,0,0] cbsz:4 blgp:4// 0000000055A8: D3AC7000 18022715 D3AD0C3C 8CF2F110
	v_mfma_scale_f32_16x16x128_f8f6f4 v[48:51], a[20:23], v[112:115], v[48:51], v21, v19 op_sel_hi:[0,0,0] cbsz:4 blgp:4// 0000000055B8: D3AC6800 18022715 D3AD0C30 8CC2E114
	buffer_load_dwordx4 a[52:55], v37, s[92:95], 0 offen offset:1024// 0000000055C8: E05C1400 80973425
	v_mfma_scale_f32_16x16x128_f8f6f4 v[64:67], a[20:23], v[120:123], v[64:67], v21, v19 op_sel_hi:[0,0,0] cbsz:4 blgp:4// 0000000055D0: D3AC7800 18022715 D3AD0C40 8D02F114
	s_waitcnt vmcnt(10)                                        // 0000000055E0: BF8C0F7A
	v_mfma_scale_f32_16x16x128_f8f6f4 v[52:55], a[24:27], v[112:115], v[52:55], v22, v19 op_sel_hi:[0,0,0] cbsz:4 blgp:4// 0000000055E4: D3AC6000 18022716 D3AD0C34 8CD2E118
	buffer_load_dwordx4 a[56:59], v38, s[92:95], 0 offen offset:1024// 0000000055F4: E05C1400 80973826
	v_mfma_scale_f32_16x16x128_f8f6f4 v[68:71], a[24:27], v[120:123], v[68:71], v22, v19 op_sel_hi:[0,0,0] cbsz:4 blgp:4// 0000000055FC: D3AC7000 18022716 D3AD0C44 8D12F118
	v_mfma_scale_f32_16x16x128_f8f6f4 v[56:59], a[28:31], v[112:115], v[56:59], v22, v19 op_sel_hi:[0,0,0] cbsz:4 blgp:4// 00000000560C: D3AC6800 18022716 D3AD0C38 8CE2E11C
	buffer_load_dwordx4 a[60:63], v39, s[92:95], 0 offen offset:1024// 00000000561C: E05C1400 80973C27
	v_mfma_scale_f32_16x16x128_f8f6f4 v[72:75], a[28:31], v[120:123], v[72:75], v22, v19 op_sel_hi:[0,0,0] cbsz:4 blgp:4// 000000005624: D3AC7800 18022716 D3AD0C48 8D22F11C
	s_add_u32 s60, 0x100, s80                                  // 000000005634: 803C50FF 00000100
	s_cmp_lt_u32 s60, s81                                      // 00000000563C: BF0A513C
	s_cselect_b32 s4, s4, 0                                    // 000000005640: 85048004
	s_add_u32 s32, s4, s32                                     // 000000005644: 80202004
	s_addc_u32 s33, 0, s33                                     // 000000005648: 82212180
	s_waitcnt vmcnt(6)                                         // 00000000564C: BF8C0F76
	s_barrier                                                  // 000000005650: BF8A0000
	v_mfma_scale_f32_16x16x128_f8f6f4 v[76:79], a[32:35], v[108:111], v[76:79], v25, v19 op_sel_hi:[0,0,0] cbsz:4 blgp:4// 000000005654: D3AC6000 00022719 D3AD0C4C 8D32D920
	buffer_load_dwordx4 a[0:3], v36, s[24:27], 0 offen         // 000000005664: E05C1000 80860024
	buffer_load_dword v23, v15, s[32:35], 0 offen              // 00000000566C: E0501000 8008170F
	buffer_load_dword v24, v16, s[32:35], 0 offen              // 000000005674: E0501000 80081810
	v_mfma_scale_f32_16x16x128_f8f6f4 v[92:95], a[32:35], v[116:119], v[92:95], v25, v19 op_sel_hi:[0,0,0] cbsz:4 blgp:4// 00000000567C: D3AC7000 00022719 D3AD0C5C 8D72E920
	v_mfma_scale_f32_16x16x128_f8f6f4 v[80:83], a[36:39], v[108:111], v[80:83], v25, v19 op_sel_hi:[0,0,0] cbsz:4 blgp:4// 00000000568C: D3AC6800 00022719 D3AD0C50 8D42D924
	buffer_load_dwordx4 a[4:7], v37, s[24:27], 0 offen         // 00000000569C: E05C1000 80860425
	v_mfma_scale_f32_16x16x128_f8f6f4 v[96:99], a[36:39], v[116:119], v[96:99], v25, v19 op_sel_hi:[0,0,0] cbsz:4 blgp:4// 0000000056A4: D3AC7800 00022719 D3AD0C60 8D82E924
	s_waitcnt vmcnt(8)                                         // 0000000056B4: BF8C0F78
	v_mfma_scale_f32_16x16x128_f8f6f4 v[84:87], a[40:43], v[108:111], v[84:87], v26, v19 op_sel_hi:[0,0,0] cbsz:4 blgp:4// 0000000056B8: D3AC6000 0002271A D3AD0C54 8D52D928
	buffer_load_dwordx4 a[8:11], v38, s[24:27], 0 offen        // 0000000056C8: E05C1000 80860826
	v_mfma_scale_f32_16x16x128_f8f6f4 v[100:103], a[40:43], v[116:119], v[100:103], v26, v19 op_sel_hi:[0,0,0] cbsz:4 blgp:4// 0000000056D0: D3AC7000 0002271A D3AD0C64 8D92E928
	v_mfma_scale_f32_16x16x128_f8f6f4 v[88:91], a[44:47], v[108:111], v[88:91], v26, v19 op_sel_hi:[0,0,0] cbsz:4 blgp:4// 0000000056E0: D3AC6800 0002271A D3AD0C58 8D62D92C
	buffer_load_dwordx4 a[12:15], v39, s[24:27], 0 offen       // 0000000056F0: E05C1000 80860C27
	v_mfma_scale_f32_16x16x128_f8f6f4 v[104:107], a[44:47], v[116:119], v[104:107], v26, v19 op_sel_hi:[0,0,0] cbsz:4 blgp:4// 0000000056F8: D3AC7800 0002271A D3AD0C68 8DA2E92C
	s_waitcnt vmcnt(8)                                         // 000000005708: BF8C0F78
	v_mfma_scale_f32_16x16x128_f8f6f4 v[76:79], a[48:51], v[112:115], v[76:79], v25, v19 op_sel_hi:[0,0,0] cbsz:4 blgp:4// 00000000570C: D3AC0000 18022719 D3AD0C4C 8D32E130
	buffer_load_dwordx4 a[16:19], v36, s[24:27], 0 offen offset:1024// 00000000571C: E05C1400 80861024
	v_mfma_scale_f32_16x16x128_f8f6f4 v[92:95], a[48:51], v[120:123], v[92:95], v25, v19 op_sel_hi:[0,0,0] cbsz:4 blgp:4// 000000005724: D3AC7000 18022719 D3AD0C5C 8D72F130
	ds_read_b128 v[124:127], v6 offset:4224                    // 000000005734: D9FE1080 7C000006
	ds_read_b128 v[128:131], v6 offset:4288                    // 00000000573C: D9FE10C0 80000006
	v_mfma_scale_f32_16x16x128_f8f6f4 v[80:83], a[52:55], v[112:115], v[80:83], v25, v19 op_sel_hi:[0,0,0] cbsz:4 blgp:4// 000000005744: D3AC6800 18022719 D3AD0C50 8D42E134
	buffer_load_dwordx4 a[20:23], v37, s[24:27], 0 offen offset:1024// 000000005754: E05C1400 80861425
	v_mfma_scale_f32_16x16x128_f8f6f4 v[96:99], a[52:55], v[120:123], v[96:99], v25, v19 op_sel_hi:[0,0,0] cbsz:4 blgp:4// 00000000575C: D3AC7800 18022719 D3AD0C60 8D82F134
	ds_read_b128 v[132:135], v6 offset:4736                    // 00000000576C: D9FE1280 84000006
	ds_read_b128 v[136:139], v6 offset:4800                    // 000000005774: D9FE12C0 88000006
	s_waitcnt vmcnt(8)                                         // 00000000577C: BF8C0F78
	v_mfma_scale_f32_16x16x128_f8f6f4 v[84:87], a[56:59], v[112:115], v[84:87], v26, v19 op_sel_hi:[0,0,0] cbsz:4 blgp:4// 000000005780: D3AC6000 1802271A D3AD0C54 8D52E138
	buffer_load_dwordx4 a[24:27], v38, s[24:27], 0 offen offset:1024// 000000005790: E05C1400 80861826
	v_mfma_scale_f32_16x16x128_f8f6f4 v[100:103], a[56:59], v[120:123], v[100:103], v26, v19 op_sel_hi:[0,0,0] cbsz:4 blgp:4// 000000005798: D3AC7000 1802271A D3AD0C64 8D92F138
	v_mfma_scale_f32_16x16x128_f8f6f4 v[88:91], a[60:63], v[112:115], v[88:91], v26, v19 op_sel_hi:[0,0,0] cbsz:4 blgp:4// 0000000057A8: D3AC6800 1802271A D3AD0C58 8D62E13C
	buffer_load_dwordx4 a[28:31], v39, s[24:27], 0 offen offset:1024// 0000000057B8: E05C1400 80861C27
	v_mfma_scale_f32_16x16x128_f8f6f4 v[104:107], a[60:63], v[120:123], v[104:107], v26, v19 op_sel_hi:[0,0,0] cbsz:4 blgp:4// 0000000057C0: D3AC7800 1802271A D3AD0C68 8DA2F13C
	s_add_u32 s60, 0x200, s80                                  // 0000000057D0: 803C50FF 00000200
	s_cmp_lt_u32 s60, s81                                      // 0000000057D8: BF0A513C
	s_cselect_b32 s57, s57, 0                                  // 0000000057DC: 85398039
	s_cselect_b32 s3, s3, 0                                    // 0000000057E0: 85038003
	s_add_u32 s60, 0x200, s80                                  // 0000000057E4: 803C50FF 00000200
	s_cmp_lt_u32 s60, s81                                      // 0000000057EC: BF0A513C
	s_cselect_b32 s58, s58, 0                                  // 0000000057F0: 853A803A
	s_add_u32 s20, s57, s20                                    // 0000000057F4: 80141439
	s_addc_u32 s21, 0, s21                                     // 0000000057F8: 82151580
	s_add_u32 s28, s3, s28                                     // 0000000057FC: 801C1C03
	s_addc_u32 s29, 0, s29                                     // 000000005800: 821D1D80
	s_add_u32 s24, s58, s24                                    // 000000005804: 8018183A
	s_addc_u32 s25, 0, s25                                     // 000000005808: 82191980
	s_add_u32 s92, s90, s92                                    // 00000000580C: 805C5C5A
	s_addc_u32 s93, 0, s93                                     // 000000005810: 825D5D80
	s_addk_i32 s80, 0x100                                      // 000000005814: B7500100
	s_cmp_lt_i32 s80, s81                                      // 000000005818: BF045150
	s_cbranch_scc0 label_0B63                                  // 00000000581C: BF8400DB
	s_waitcnt vmcnt(6) lgkmcnt(0)                              // 000000005820: BF8C0076
	s_barrier                                                  // 000000005824: BF8A0000
	v_mfma_scale_f32_16x16x128_f8f6f4 v[44:47], a[0:3], v[124:127], v[44:47], v23, v20 op_sel_hi:[0,0,0] cbsz:4 blgp:4// 000000005828: D3AC6000 00022917 D3AD0C2C 8CB2F900
	buffer_load_dwordx4 a[32:35], v36, s[92:95], 0 offen       // 000000005838: E05C1000 80972024
	buffer_load_dwordx4 v35, s[20:23], 0 offen lds             // 000000005840: E05D1000 80050023
	s_add_u32 m0, 0, s51                                       // 000000005848: 807C3380
	v_mfma_scale_f32_16x16x128_f8f6f4 v[60:63], a[0:3], v[132:135], v[60:63], v23, v20 op_sel_hi:[0,0,0] cbsz:4 blgp:4// 00000000584C: D3AC7000 00022917 D3AD0C3C 8CF30900
	v_mfma_scale_f32_16x16x128_f8f6f4 v[48:51], a[4:7], v[124:127], v[48:51], v23, v20 op_sel_hi:[0,0,0] cbsz:4 blgp:4// 00000000585C: D3AC6800 00022917 D3AD0C30 8CC2F904
	buffer_load_dwordx4 a[36:39], v37, s[92:95], 0 offen       // 00000000586C: E05C1000 80972425
	buffer_load_dword v19, v12, s[28:31], 0 offen              // 000000005874: E0501000 8007130C
	buffer_load_dword v27, v17, s[32:35], 0 offen              // 00000000587C: E0501000 80081B11
	buffer_load_dword v28, v18, s[32:35], 0 offen              // 000000005884: E0501000 80081C12
	v_mfma_scale_f32_16x16x128_f8f6f4 v[64:67], a[4:7], v[132:135], v[64:67], v23, v20 op_sel_hi:[0,0,0] cbsz:4 blgp:4// 00000000588C: D3AC7800 00022917 D3AD0C40 8D030904
	s_waitcnt vmcnt(10)                                        // 00000000589C: BF8C0F7A
	v_mfma_scale_f32_16x16x128_f8f6f4 v[52:55], a[8:11], v[124:127], v[52:55], v24, v20 op_sel_hi:[0,0,0] cbsz:4 blgp:4// 0000000058A0: D3AC6000 00022918 D3AD0C34 8CD2F908
	buffer_load_dwordx4 a[40:43], v38, s[92:95], 0 offen       // 0000000058B0: E05C1000 80972826
	v_mfma_scale_f32_16x16x128_f8f6f4 v[68:71], a[8:11], v[132:135], v[68:71], v24, v20 op_sel_hi:[0,0,0] cbsz:4 blgp:4// 0000000058B8: D3AC7000 00022918 D3AD0C44 8D130908
	v_mfma_scale_f32_16x16x128_f8f6f4 v[56:59], a[12:15], v[124:127], v[56:59], v24, v20 op_sel_hi:[0,0,0] cbsz:4 blgp:4// 0000000058C8: D3AC6800 00022918 D3AD0C38 8CE2F90C
	buffer_load_dwordx4 a[44:47], v39, s[92:95], 0 offen       // 0000000058D8: E05C1000 80972C27
	v_mfma_scale_f32_16x16x128_f8f6f4 v[72:75], a[12:15], v[132:135], v[72:75], v24, v20 op_sel_hi:[0,0,0] cbsz:4 blgp:4// 0000000058E0: D3AC7800 00022918 D3AD0C48 8D23090C
	s_nop 0                                                    // 0000000058F0: BF800000
	s_waitcnt vmcnt(10)                                        // 0000000058F4: BF8C0F7A
	v_mfma_scale_f32_16x16x128_f8f6f4 v[44:47], a[16:19], v[128:131], v[44:47], v23, v20 op_sel_hi:[0,0,0] cbsz:4 blgp:4// 0000000058F8: D3AC6000 18022917 D3AD0C2C 8CB30110
	buffer_load_dwordx4 a[48:51], v36, s[92:95], 0 offen offset:1024// 000000005908: E05C1400 80973024
	v_mfma_scale_f32_16x16x128_f8f6f4 v[60:63], a[16:19], v[136:139], v[60:63], v23, v20 op_sel_hi:[0,0,0] cbsz:4 blgp:4// 000000005910: D3AC7000 18022917 D3AD0C3C 8CF31110
	v_mfma_scale_f32_16x16x128_f8f6f4 v[48:51], a[20:23], v[128:131], v[48:51], v23, v20 op_sel_hi:[0,0,0] cbsz:4 blgp:4// 000000005920: D3AC6800 18022917 D3AD0C30 8CC30114
	buffer_load_dwordx4 a[52:55], v37, s[92:95], 0 offen offset:1024// 000000005930: E05C1400 80973425
	v_mfma_scale_f32_16x16x128_f8f6f4 v[64:67], a[20:23], v[136:139], v[64:67], v23, v20 op_sel_hi:[0,0,0] cbsz:4 blgp:4// 000000005938: D3AC7800 18022917 D3AD0C40 8D031114
	s_waitcnt vmcnt(10)                                        // 000000005948: BF8C0F7A
	v_mfma_scale_f32_16x16x128_f8f6f4 v[52:55], a[24:27], v[128:131], v[52:55], v24, v20 op_sel_hi:[0,0,0] cbsz:4 blgp:4// 00000000594C: D3AC6000 18022918 D3AD0C34 8CD30118
	buffer_load_dwordx4 a[56:59], v38, s[92:95], 0 offen offset:1024// 00000000595C: E05C1400 80973826
	v_mfma_scale_f32_16x16x128_f8f6f4 v[68:71], a[24:27], v[136:139], v[68:71], v24, v20 op_sel_hi:[0,0,0] cbsz:4 blgp:4// 000000005964: D3AC7000 18022918 D3AD0C44 8D131118
	v_mfma_scale_f32_16x16x128_f8f6f4 v[56:59], a[28:31], v[128:131], v[56:59], v24, v20 op_sel_hi:[0,0,0] cbsz:4 blgp:4// 000000005974: D3AC6800 18022918 D3AD0C38 8CE3011C
	buffer_load_dwordx4 a[60:63], v39, s[92:95], 0 offen offset:1024// 000000005984: E05C1400 80973C27
	v_mfma_scale_f32_16x16x128_f8f6f4 v[72:75], a[28:31], v[136:139], v[72:75], v24, v20 op_sel_hi:[0,0,0] cbsz:4 blgp:4// 00000000598C: D3AC7800 18022918 D3AD0C48 8D23111C
	s_add_u32 s60, 0x100, s80                                  // 00000000599C: 803C50FF 00000100
	s_cmp_lt_u32 s60, s81                                      // 0000000059A4: BF0A513C
	s_cselect_b32 s4, s4, 0                                    // 0000000059A8: 85048004
	s_add_u32 s32, s4, s32                                     // 0000000059AC: 80202004
	s_addc_u32 s33, 0, s33                                     // 0000000059B0: 82212180
	s_waitcnt vmcnt(6)                                         // 0000000059B4: BF8C0F76
	s_barrier                                                  // 0000000059B8: BF8A0000
	v_mfma_scale_f32_16x16x128_f8f6f4 v[76:79], a[32:35], v[124:127], v[76:79], v27, v20 op_sel_hi:[0,0,0] cbsz:4 blgp:4// 0000000059BC: D3AC6000 0002291B D3AD0C4C 8D32F920
	buffer_load_dwordx4 a[0:3], v36, s[24:27], 0 offen         // 0000000059CC: E05C1000 80860024
	buffer_load_dword v21, v15, s[32:35], 0 offen              // 0000000059D4: E0501000 8008150F
	buffer_load_dword v22, v16, s[32:35], 0 offen              // 0000000059DC: E0501000 80081610
	v_mfma_scale_f32_16x16x128_f8f6f4 v[92:95], a[32:35], v[132:135], v[92:95], v27, v20 op_sel_hi:[0,0,0] cbsz:4 blgp:4// 0000000059E4: D3AC7000 0002291B D3AD0C5C 8D730920
	v_mfma_scale_f32_16x16x128_f8f6f4 v[80:83], a[36:39], v[124:127], v[80:83], v27, v20 op_sel_hi:[0,0,0] cbsz:4 blgp:4// 0000000059F4: D3AC6800 0002291B D3AD0C50 8D42F924
	buffer_load_dwordx4 a[4:7], v37, s[24:27], 0 offen         // 000000005A04: E05C1000 80860425
	v_mfma_scale_f32_16x16x128_f8f6f4 v[96:99], a[36:39], v[132:135], v[96:99], v27, v20 op_sel_hi:[0,0,0] cbsz:4 blgp:4// 000000005A0C: D3AC7800 0002291B D3AD0C60 8D830924
	s_waitcnt vmcnt(8)                                         // 000000005A1C: BF8C0F78
	v_mfma_scale_f32_16x16x128_f8f6f4 v[84:87], a[40:43], v[124:127], v[84:87], v28, v20 op_sel_hi:[0,0,0] cbsz:4 blgp:4// 000000005A20: D3AC6000 0002291C D3AD0C54 8D52F928
	buffer_load_dwordx4 a[8:11], v38, s[24:27], 0 offen        // 000000005A30: E05C1000 80860826
	v_mfma_scale_f32_16x16x128_f8f6f4 v[100:103], a[40:43], v[132:135], v[100:103], v28, v20 op_sel_hi:[0,0,0] cbsz:4 blgp:4// 000000005A38: D3AC7000 0002291C D3AD0C64 8D930928
	v_mfma_scale_f32_16x16x128_f8f6f4 v[88:91], a[44:47], v[124:127], v[88:91], v28, v20 op_sel_hi:[0,0,0] cbsz:4 blgp:4// 000000005A48: D3AC6800 0002291C D3AD0C58 8D62F92C
	buffer_load_dwordx4 a[12:15], v39, s[24:27], 0 offen       // 000000005A58: E05C1000 80860C27
	v_mfma_scale_f32_16x16x128_f8f6f4 v[104:107], a[44:47], v[132:135], v[104:107], v28, v20 op_sel_hi:[0,0,0] cbsz:4 blgp:4// 000000005A60: D3AC7800 0002291C D3AD0C68 8DA3092C
	s_waitcnt vmcnt(8)                                         // 000000005A70: BF8C0F78
	v_mfma_scale_f32_16x16x128_f8f6f4 v[76:79], a[48:51], v[128:131], v[76:79], v27, v20 op_sel_hi:[0,0,0] cbsz:4 blgp:4// 000000005A74: D3AC6000 1802291B D3AD0C4C 8D330130
	buffer_load_dwordx4 a[16:19], v36, s[24:27], 0 offen offset:1024// 000000005A84: E05C1400 80861024
	v_mfma_scale_f32_16x16x128_f8f6f4 v[92:95], a[48:51], v[136:139], v[92:95], v27, v20 op_sel_hi:[0,0,0] cbsz:4 blgp:4// 000000005A8C: D3AC7000 1802291B D3AD0C5C 8D731130
	ds_read_b128 v[108:111], v6                                // 000000005A9C: D9FE0000 6C000006
	ds_read_b128 v[112:115], v6 offset:64                      // 000000005AA4: D9FE0040 70000006
	v_mfma_scale_f32_16x16x128_f8f6f4 v[80:83], a[52:55], v[128:131], v[80:83], v27, v20 op_sel_hi:[0,0,0] cbsz:4 blgp:4// 000000005AAC: D3AC6800 1802291B D3AD0C50 8D430134
	buffer_load_dwordx4 a[20:23], v37, s[24:27], 0 offen offset:1024// 000000005ABC: E05C1400 80861425
	v_mfma_scale_f32_16x16x128_f8f6f4 v[96:99], a[52:55], v[136:139], v[96:99], v27, v20 op_sel_hi:[0,0,0] cbsz:4 blgp:4// 000000005AC4: D3AC7800 1802291B D3AD0C60 8D831134
	ds_read_b128 v[116:119], v6 offset:512                     // 000000005AD4: D9FE0200 74000006
	ds_read_b128 v[120:123], v6 offset:576                     // 000000005ADC: D9FE0240 78000006
	s_waitcnt vmcnt(8)                                         // 000000005AE4: BF8C0F78
	v_mfma_scale_f32_16x16x128_f8f6f4 v[84:87], a[56:59], v[128:131], v[84:87], v28, v20 op_sel_hi:[0,0,0] cbsz:4 blgp:4// 000000005AE8: D3AC6000 1802291C D3AD0C54 8D530138
	buffer_load_dwordx4 a[24:27], v38, s[24:27], 0 offen offset:1024// 000000005AF8: E05C1400 80861826
	v_mfma_scale_f32_16x16x128_f8f6f4 v[100:103], a[56:59], v[136:139], v[100:103], v28, v20 op_sel_hi:[0,0,0] cbsz:4 blgp:4// 000000005B00: D3AC7000 1802291C D3AD0C64 8D931138
	v_mfma_scale_f32_16x16x128_f8f6f4 v[88:91], a[60:63], v[128:131], v[88:91], v28, v20 op_sel_hi:[0,0,0] cbsz:4 blgp:4// 000000005B10: D3AC6800 1802291C D3AD0C58 8D63013C
	buffer_load_dwordx4 a[28:31], v39, s[24:27], 0 offen offset:1024// 000000005B20: E05C1400 80861C27
	v_mfma_scale_f32_16x16x128_f8f6f4 v[104:107], a[60:63], v[136:139], v[104:107], v28, v20 op_sel_hi:[0,0,0] cbsz:4 blgp:4// 000000005B28: D3AC7800 1802291C D3AD0C68 8DA3113C
	s_add_u32 s60, 0x200, s80                                  // 000000005B38: 803C50FF 00000200
	s_cmp_lt_u32 s60, s81                                      // 000000005B40: BF0A513C
	s_cselect_b32 s57, s57, 0                                  // 000000005B44: 85398039
	s_cselect_b32 s3, s3, 0                                    // 000000005B48: 85038003
	s_add_u32 s60, 0x200, s80                                  // 000000005B4C: 803C50FF 00000200
	s_cmp_lt_u32 s60, s81                                      // 000000005B54: BF0A513C
	s_cselect_b32 s58, s58, 0                                  // 000000005B58: 853A803A
	s_add_u32 s20, s57, s20                                    // 000000005B5C: 80141439
	s_addc_u32 s21, 0, s21                                     // 000000005B60: 82151580
	s_add_u32 s28, s3, s28                                     // 000000005B64: 801C1C03
	s_addc_u32 s29, 0, s29                                     // 000000005B68: 821D1D80
	s_add_u32 s24, s58, s24                                    // 000000005B6C: 8018183A
	s_addc_u32 s25, 0, s25                                     // 000000005B70: 82191980
	s_add_u32 s92, s90, s92                                    // 000000005B74: 805C5C5A
	s_addc_u32 s93, 0, s93                                     // 000000005B78: 825D5D80
	s_addk_i32 s80, 0x100                                      // 000000005B7C: B7500100
	s_cmp_lt_i32 s80, s81                                      // 000000005B80: BF045150
	s_cbranch_scc0 label_0B63                                  // 000000005B84: BF840001
	s_branch label_09AE                                        // 000000005B88: BF82FE4B

0000000000005b8c <label_0B63>:
	s_mov_b32 s36, -1                                          // 000000005B8C: BEA400C1
	s_mov_b32 s37, -1                                          // 000000005B90: BEA500C1
	s_mov_b64 s[60:61], 0                                      // 000000005B94: BEBC0180
	s_cmp_lt_u32 s82, s66                                      // 000000005B98: BF0A4252
	s_cselect_b64 s[20:21], s[36:37], s[60:61]                 // 000000005B9C: 85943C24
	s_cmp_lt_u32 s83, s66                                      // 000000005BA0: BF0A4253
	s_cselect_b64 s[22:23], s[36:37], s[60:61]                 // 000000005BA4: 85963C24
	s_cmp_lt_u32 s84, s66                                      // 000000005BA8: BF0A4254
	s_cselect_b64 s[24:25], s[36:37], s[60:61]                 // 000000005BAC: 85983C24
	s_cmp_lt_u32 s85, s66                                      // 000000005BB0: BF0A4255
	s_cselect_b64 s[26:27], s[36:37], s[60:61]                 // 000000005BB4: 859A3C24
	s_cmp_lt_u32 s86, s66                                      // 000000005BB8: BF0A4256
	s_cselect_b64 s[28:29], s[36:37], s[60:61]                 // 000000005BBC: 859C3C24
	s_cmp_lt_u32 s87, s66                                      // 000000005BC0: BF0A4257
	s_cselect_b64 s[30:31], s[36:37], s[60:61]                 // 000000005BC4: 859E3C24
	s_cmp_lt_u32 s88, s66                                      // 000000005BC8: BF0A4258
	s_cselect_b64 s[32:33], s[36:37], s[60:61]                 // 000000005BCC: 85A03C24
	s_cmp_lt_u32 s89, s66                                      // 000000005BD0: BF0A4259
	s_cselect_b64 s[34:35], s[36:37], s[60:61]                 // 000000005BD4: 85A23C24
	v_mov_b32_e32 v1, 0xbfcc4231                               // 000000005BD8: 7E0202FF BFCC4231
	s_waitcnt vmcnt(6)                                         // 000000005BE0: BF8C0F76
	buffer_load_dwordx4 a[0:3], v40, s[12:15], 0 offen         // 000000005BE4: E05C1000 80830028
	v_mul_f32_e32 v2, v44, v44                                 // 000000005BEC: 0A04592C
	v_mul_f32_e32 v3, v45, v45                                 // 000000005BF0: 0A065B2D
	v_mul_f32_e32 v4, v46, v46                                 // 000000005BF4: 0A085D2E
	v_mul_f32_e32 v5, v47, v47                                 // 000000005BF8: 0A0A5F2F
	v_fma_f32 v2, v2, s77, v1                                  // 000000005BFC: D1CB0002 04049B02
	v_fma_f32 v3, v3, s77, v1                                  // 000000005C04: D1CB0003 04049B03
	v_fma_f32 v4, v4, s77, v1                                  // 000000005C0C: D1CB0004 04049B04
	v_fma_f32 v5, v5, s77, v1                                  // 000000005C14: D1CB0005 04049B05
	v_mul_f32_e32 v2, v2, v44                                  // 000000005C1C: 0A045902
	v_mul_f32_e32 v3, v3, v45                                  // 000000005C20: 0A065B03
	v_mul_f32_e32 v4, v4, v46                                  // 000000005C24: 0A085D04
	v_mul_f32_e32 v5, v5, v47                                  // 000000005C28: 0A0A5F05
	v_mul_f32_e64 v2, v2, s6                                   // 000000005C2C: D1050002 00000D02
	v_mul_f32_e64 v3, v3, s6                                   // 000000005C34: D1050003 00000D03
	v_mul_f32_e64 v4, v4, s6                                   // 000000005C3C: D1050004 00000D04
	v_mul_f32_e64 v5, v5, s6                                   // 000000005C44: D1050005 00000D05
	v_exp_f32_e32 v2, v2                                       // 000000005C4C: 7E044102
	v_exp_f32_e32 v3, v3                                       // 000000005C50: 7E064103
	v_exp_f32_e32 v4, v4                                       // 000000005C54: 7E084104
	v_exp_f32_e32 v5, v5                                       // 000000005C58: 7E0A4105
	buffer_load_dwordx4 a[4:7], v41, s[12:15], 0 offen         // 000000005C5C: E05C1000 80830429
	v_add_f32_e64 v2, v2, 1.0                                  // 000000005C64: D1010002 0001E502
	v_add_f32_e64 v3, v3, 1.0                                  // 000000005C6C: D1010003 0001E503
	v_add_f32_e64 v4, v4, 1.0                                  // 000000005C74: D1010004 0001E504
	v_add_f32_e64 v5, v5, 1.0                                  // 000000005C7C: D1010005 0001E505
	v_rcp_f32_e32 v2, v2                                       // 000000005C84: 7E044502
	v_rcp_f32_e32 v3, v3                                       // 000000005C88: 7E064503
	v_rcp_f32_e32 v4, v4                                       // 000000005C8C: 7E084504
	v_rcp_f32_e32 v5, v5                                       // 000000005C90: 7E0A4505
	v_mul_f32_e32 v44, v44, v2                                 // 000000005C94: 0A58052C
	v_mul_f32_e32 v45, v45, v3                                 // 000000005C98: 0A5A072D
	v_mul_f32_e32 v46, v46, v4                                 // 000000005C9C: 0A5C092E
	v_mul_f32_e32 v47, v47, v5                                 // 000000005CA0: 0A5E0B2F
	v_mul_f32_e32 v44, v44, v76                                // 000000005CA4: 0A58992C
	v_mul_f32_e32 v45, v45, v77                                // 000000005CA8: 0A5A9B2D
	v_mul_f32_e32 v46, v46, v78                                // 000000005CAC: 0A5C9D2E
	v_mul_f32_e32 v47, v47, v79                                // 000000005CB0: 0A5E9F2F
	s_waitcnt vmcnt(6)                                         // 000000005CB4: BF8C0F76
	buffer_load_dwordx4 a[8:11], v42, s[12:15], 0 offen        // 000000005CB8: E05C1000 8083082A
	v_mul_f32_e32 v2, v48, v48                                 // 000000005CC0: 0A046130
	v_mul_f32_e32 v3, v49, v49                                 // 000000005CC4: 0A066331
	v_mul_f32_e32 v4, v50, v50                                 // 000000005CC8: 0A086532
	v_mul_f32_e32 v5, v51, v51                                 // 000000005CCC: 0A0A6733
	v_fma_f32 v2, v2, s77, v1                                  // 000000005CD0: D1CB0002 04049B02
	v_fma_f32 v3, v3, s77, v1                                  // 000000005CD8: D1CB0003 04049B03
	v_fma_f32 v4, v4, s77, v1                                  // 000000005CE0: D1CB0004 04049B04
	v_fma_f32 v5, v5, s77, v1                                  // 000000005CE8: D1CB0005 04049B05
	v_mul_f32_e32 v2, v2, v48                                  // 000000005CF0: 0A046102
	v_mul_f32_e32 v3, v3, v49                                  // 000000005CF4: 0A066303
	v_mul_f32_e32 v4, v4, v50                                  // 000000005CF8: 0A086504
	v_mul_f32_e32 v5, v5, v51                                  // 000000005CFC: 0A0A6705
	v_mul_f32_e64 v2, v2, s6                                   // 000000005D00: D1050002 00000D02
	v_mul_f32_e64 v3, v3, s6                                   // 000000005D08: D1050003 00000D03
	v_mul_f32_e64 v4, v4, s6                                   // 000000005D10: D1050004 00000D04
	v_mul_f32_e64 v5, v5, s6                                   // 000000005D18: D1050005 00000D05
	v_exp_f32_e32 v2, v2                                       // 000000005D20: 7E044102
	v_exp_f32_e32 v3, v3                                       // 000000005D24: 7E064103
	v_exp_f32_e32 v4, v4                                       // 000000005D28: 7E084104
	v_exp_f32_e32 v5, v5                                       // 000000005D2C: 7E0A4105
	buffer_load_dwordx4 a[12:15], v43, s[12:15], 0 offen       // 000000005D30: E05C1000 80830C2B
	v_add_f32_e64 v2, v2, 1.0                                  // 000000005D38: D1010002 0001E502
	v_add_f32_e64 v3, v3, 1.0                                  // 000000005D40: D1010003 0001E503
	v_add_f32_e64 v4, v4, 1.0                                  // 000000005D48: D1010004 0001E504
	v_add_f32_e64 v5, v5, 1.0                                  // 000000005D50: D1010005 0001E505
	v_rcp_f32_e32 v2, v2                                       // 000000005D58: 7E044502
	v_rcp_f32_e32 v3, v3                                       // 000000005D5C: 7E064503
	v_rcp_f32_e32 v4, v4                                       // 000000005D60: 7E084504
	v_rcp_f32_e32 v5, v5                                       // 000000005D64: 7E0A4505
	v_mul_f32_e32 v48, v48, v2                                 // 000000005D68: 0A600530
	v_mul_f32_e32 v49, v49, v3                                 // 000000005D6C: 0A620731
	v_mul_f32_e32 v50, v50, v4                                 // 000000005D70: 0A640932
	v_mul_f32_e32 v51, v51, v5                                 // 000000005D74: 0A660B33
	v_mul_f32_e32 v48, v48, v80                                // 000000005D78: 0A60A130
	v_mul_f32_e32 v49, v49, v81                                // 000000005D7C: 0A62A331
	v_mul_f32_e32 v50, v50, v82                                // 000000005D80: 0A64A532
	v_mul_f32_e32 v51, v51, v83                                // 000000005D84: 0A66A733
	s_waitcnt vmcnt(6)                                         // 000000005D88: BF8C0F76
	buffer_load_dwordx4 a[16:19], v40, s[12:15], 0 offen offset:1024// 000000005D8C: E05C1400 80831028
	v_mul_f32_e32 v2, v52, v52                                 // 000000005D94: 0A046934
	v_mul_f32_e32 v3, v53, v53                                 // 000000005D98: 0A066B35
	v_mul_f32_e32 v4, v54, v54                                 // 000000005D9C: 0A086D36
	v_mul_f32_e32 v5, v55, v55                                 // 000000005DA0: 0A0A6F37
	v_fma_f32 v2, v2, s77, v1                                  // 000000005DA4: D1CB0002 04049B02
	v_fma_f32 v3, v3, s77, v1                                  // 000000005DAC: D1CB0003 04049B03
	v_fma_f32 v4, v4, s77, v1                                  // 000000005DB4: D1CB0004 04049B04
	v_fma_f32 v5, v5, s77, v1                                  // 000000005DBC: D1CB0005 04049B05
	v_mul_f32_e32 v2, v2, v52                                  // 000000005DC4: 0A046902
	v_mul_f32_e32 v3, v3, v53                                  // 000000005DC8: 0A066B03
	v_mul_f32_e32 v4, v4, v54                                  // 000000005DCC: 0A086D04
	v_mul_f32_e32 v5, v5, v55                                  // 000000005DD0: 0A0A6F05
	v_mul_f32_e64 v2, v2, s6                                   // 000000005DD4: D1050002 00000D02
	v_mul_f32_e64 v3, v3, s6                                   // 000000005DDC: D1050003 00000D03
	v_mul_f32_e64 v4, v4, s6                                   // 000000005DE4: D1050004 00000D04
	v_mul_f32_e64 v5, v5, s6                                   // 000000005DEC: D1050005 00000D05
	v_exp_f32_e32 v2, v2                                       // 000000005DF4: 7E044102
	v_exp_f32_e32 v3, v3                                       // 000000005DF8: 7E064103
	v_exp_f32_e32 v4, v4                                       // 000000005DFC: 7E084104
	v_exp_f32_e32 v5, v5                                       // 000000005E00: 7E0A4105
	buffer_load_dwordx4 a[20:23], v41, s[12:15], 0 offen offset:1024// 000000005E04: E05C1400 80831429
	v_add_f32_e64 v2, v2, 1.0                                  // 000000005E0C: D1010002 0001E502
	v_add_f32_e64 v3, v3, 1.0                                  // 000000005E14: D1010003 0001E503
	v_add_f32_e64 v4, v4, 1.0                                  // 000000005E1C: D1010004 0001E504
	v_add_f32_e64 v5, v5, 1.0                                  // 000000005E24: D1010005 0001E505
	v_rcp_f32_e32 v2, v2                                       // 000000005E2C: 7E044502
	v_rcp_f32_e32 v3, v3                                       // 000000005E30: 7E064503
	v_rcp_f32_e32 v4, v4                                       // 000000005E34: 7E084504
	v_rcp_f32_e32 v5, v5                                       // 000000005E38: 7E0A4505
	v_mul_f32_e32 v52, v52, v2                                 // 000000005E3C: 0A680534
	v_mul_f32_e32 v53, v53, v3                                 // 000000005E40: 0A6A0735
	v_mul_f32_e32 v54, v54, v4                                 // 000000005E44: 0A6C0936
	v_mul_f32_e32 v55, v55, v5                                 // 000000005E48: 0A6E0B37
	v_mul_f32_e32 v52, v52, v84                                // 000000005E4C: 0A68A934
	v_mul_f32_e32 v53, v53, v85                                // 000000005E50: 0A6AAB35
	v_mul_f32_e32 v54, v54, v86                                // 000000005E54: 0A6CAD36
	v_mul_f32_e32 v55, v55, v87                                // 000000005E58: 0A6EAF37
	s_waitcnt vmcnt(6)                                         // 000000005E5C: BF8C0F76
	buffer_load_dwordx4 a[24:27], v42, s[12:15], 0 offen offset:1024// 000000005E60: E05C1400 8083182A
	v_mul_f32_e32 v2, v56, v56                                 // 000000005E68: 0A047138
	v_mul_f32_e32 v3, v57, v57                                 // 000000005E6C: 0A067339
	v_mul_f32_e32 v4, v58, v58                                 // 000000005E70: 0A08753A
	v_mul_f32_e32 v5, v59, v59                                 // 000000005E74: 0A0A773B
	v_fma_f32 v2, v2, s77, v1                                  // 000000005E78: D1CB0002 04049B02
	v_fma_f32 v3, v3, s77, v1                                  // 000000005E80: D1CB0003 04049B03
	v_fma_f32 v4, v4, s77, v1                                  // 000000005E88: D1CB0004 04049B04
	v_fma_f32 v5, v5, s77, v1                                  // 000000005E90: D1CB0005 04049B05
	v_mul_f32_e32 v2, v2, v56                                  // 000000005E98: 0A047102
	v_mul_f32_e32 v3, v3, v57                                  // 000000005E9C: 0A067303
	v_mul_f32_e32 v4, v4, v58                                  // 000000005EA0: 0A087504
	v_mul_f32_e32 v5, v5, v59                                  // 000000005EA4: 0A0A7705
	v_mul_f32_e64 v2, v2, s6                                   // 000000005EA8: D1050002 00000D02
	v_mul_f32_e64 v3, v3, s6                                   // 000000005EB0: D1050003 00000D03
	v_mul_f32_e64 v4, v4, s6                                   // 000000005EB8: D1050004 00000D04
	v_mul_f32_e64 v5, v5, s6                                   // 000000005EC0: D1050005 00000D05
	v_exp_f32_e32 v2, v2                                       // 000000005EC8: 7E044102
	v_exp_f32_e32 v3, v3                                       // 000000005ECC: 7E064103
	v_exp_f32_e32 v4, v4                                       // 000000005ED0: 7E084104
	v_exp_f32_e32 v5, v5                                       // 000000005ED4: 7E0A4105
	buffer_load_dwordx4 a[28:31], v43, s[12:15], 0 offen offset:1024// 000000005ED8: E05C1400 80831C2B
	v_add_f32_e64 v2, v2, 1.0                                  // 000000005EE0: D1010002 0001E502
	v_add_f32_e64 v3, v3, 1.0                                  // 000000005EE8: D1010003 0001E503
	v_add_f32_e64 v4, v4, 1.0                                  // 000000005EF0: D1010004 0001E504
	v_add_f32_e64 v5, v5, 1.0                                  // 000000005EF8: D1010005 0001E505
	v_rcp_f32_e32 v2, v2                                       // 000000005F00: 7E044502
	v_rcp_f32_e32 v3, v3                                       // 000000005F04: 7E064503
	v_rcp_f32_e32 v4, v4                                       // 000000005F08: 7E084504
	v_rcp_f32_e32 v5, v5                                       // 000000005F0C: 7E0A4505
	v_mul_f32_e32 v56, v56, v2                                 // 000000005F10: 0A700538
	v_mul_f32_e32 v57, v57, v3                                 // 000000005F14: 0A720739
	v_mul_f32_e32 v58, v58, v4                                 // 000000005F18: 0A74093A
	v_mul_f32_e32 v59, v59, v5                                 // 000000005F1C: 0A760B3B
	v_mul_f32_e32 v56, v56, v88                                // 000000005F20: 0A70B138
	v_mul_f32_e32 v57, v57, v89                                // 000000005F24: 0A72B339
	v_mul_f32_e32 v58, v58, v90                                // 000000005F28: 0A74B53A
	v_mul_f32_e32 v59, v59, v91                                // 000000005F2C: 0A76B73B
	s_waitcnt vmcnt(6)                                         // 000000005F30: BF8C0F76
	v_mul_f32_e32 v2, v60, v60                                 // 000000005F34: 0A04793C
	v_mul_f32_e32 v3, v61, v61                                 // 000000005F38: 0A067B3D
	v_mul_f32_e32 v4, v62, v62                                 // 000000005F3C: 0A087D3E
	v_mul_f32_e32 v5, v63, v63                                 // 000000005F40: 0A0A7F3F
	v_fma_f32 v2, v2, s77, v1                                  // 000000005F44: D1CB0002 04049B02
	v_fma_f32 v3, v3, s77, v1                                  // 000000005F4C: D1CB0003 04049B03
	v_fma_f32 v4, v4, s77, v1                                  // 000000005F54: D1CB0004 04049B04
	v_fma_f32 v5, v5, s77, v1                                  // 000000005F5C: D1CB0005 04049B05
	v_mul_f32_e32 v2, v2, v60                                  // 000000005F64: 0A047902
	v_mul_f32_e32 v3, v3, v61                                  // 000000005F68: 0A067B03
	v_mul_f32_e32 v4, v4, v62                                  // 000000005F6C: 0A087D04
	v_mul_f32_e32 v5, v5, v63                                  // 000000005F70: 0A0A7F05
	v_mul_f32_e64 v2, v2, s6                                   // 000000005F74: D1050002 00000D02
	v_mul_f32_e64 v3, v3, s6                                   // 000000005F7C: D1050003 00000D03
	v_mul_f32_e64 v4, v4, s6                                   // 000000005F84: D1050004 00000D04
	v_mul_f32_e64 v5, v5, s6                                   // 000000005F8C: D1050005 00000D05
	v_exp_f32_e32 v2, v2                                       // 000000005F94: 7E044102
	v_exp_f32_e32 v3, v3                                       // 000000005F98: 7E064103
	v_exp_f32_e32 v4, v4                                       // 000000005F9C: 7E084104
	v_exp_f32_e32 v5, v5                                       // 000000005FA0: 7E0A4105
	v_add_f32_e64 v2, v2, 1.0                                  // 000000005FA4: D1010002 0001E502
	v_add_f32_e64 v3, v3, 1.0                                  // 000000005FAC: D1010003 0001E503
	v_add_f32_e64 v4, v4, 1.0                                  // 000000005FB4: D1010004 0001E504
	v_add_f32_e64 v5, v5, 1.0                                  // 000000005FBC: D1010005 0001E505
	v_rcp_f32_e32 v2, v2                                       // 000000005FC4: 7E044502
	v_rcp_f32_e32 v3, v3                                       // 000000005FC8: 7E064503
	v_rcp_f32_e32 v4, v4                                       // 000000005FCC: 7E084504
	v_rcp_f32_e32 v5, v5                                       // 000000005FD0: 7E0A4505
	v_mul_f32_e32 v60, v60, v2                                 // 000000005FD4: 0A78053C
	v_mul_f32_e32 v61, v61, v3                                 // 000000005FD8: 0A7A073D
	v_mul_f32_e32 v62, v62, v4                                 // 000000005FDC: 0A7C093E
	v_mul_f32_e32 v63, v63, v5                                 // 000000005FE0: 0A7E0B3F
	v_mul_f32_e32 v60, v60, v92                                // 000000005FE4: 0A78B93C
	v_mul_f32_e32 v61, v61, v93                                // 000000005FE8: 0A7ABB3D
	v_mul_f32_e32 v62, v62, v94                                // 000000005FEC: 0A7CBD3E
	v_mul_f32_e32 v63, v63, v95                                // 000000005FF0: 0A7EBF3F
	s_waitcnt vmcnt(6)                                         // 000000005FF4: BF8C0F76
	v_mul_f32_e32 v2, v64, v64                                 // 000000005FF8: 0A048140
	v_mul_f32_e32 v3, v65, v65                                 // 000000005FFC: 0A068341
	v_mul_f32_e32 v4, v66, v66                                 // 000000006000: 0A088542
	v_mul_f32_e32 v5, v67, v67                                 // 000000006004: 0A0A8743
	v_fma_f32 v2, v2, s77, v1                                  // 000000006008: D1CB0002 04049B02
	v_fma_f32 v3, v3, s77, v1                                  // 000000006010: D1CB0003 04049B03
	v_fma_f32 v4, v4, s77, v1                                  // 000000006018: D1CB0004 04049B04
	v_fma_f32 v5, v5, s77, v1                                  // 000000006020: D1CB0005 04049B05
	v_mul_f32_e32 v2, v2, v64                                  // 000000006028: 0A048102
	v_mul_f32_e32 v3, v3, v65                                  // 00000000602C: 0A068303
	v_mul_f32_e32 v4, v4, v66                                  // 000000006030: 0A088504
	v_mul_f32_e32 v5, v5, v67                                  // 000000006034: 0A0A8705
	v_mul_f32_e64 v2, v2, s6                                   // 000000006038: D1050002 00000D02
	v_mul_f32_e64 v3, v3, s6                                   // 000000006040: D1050003 00000D03
	v_mul_f32_e64 v4, v4, s6                                   // 000000006048: D1050004 00000D04
	v_mul_f32_e64 v5, v5, s6                                   // 000000006050: D1050005 00000D05
	v_exp_f32_e32 v2, v2                                       // 000000006058: 7E044102
	v_exp_f32_e32 v3, v3                                       // 00000000605C: 7E064103
	v_exp_f32_e32 v4, v4                                       // 000000006060: 7E084104
	v_exp_f32_e32 v5, v5                                       // 000000006064: 7E0A4105
	v_add_f32_e64 v2, v2, 1.0                                  // 000000006068: D1010002 0001E502
	v_add_f32_e64 v3, v3, 1.0                                  // 000000006070: D1010003 0001E503
	v_add_f32_e64 v4, v4, 1.0                                  // 000000006078: D1010004 0001E504
	v_add_f32_e64 v5, v5, 1.0                                  // 000000006080: D1010005 0001E505
	v_rcp_f32_e32 v2, v2                                       // 000000006088: 7E044502
	v_rcp_f32_e32 v3, v3                                       // 00000000608C: 7E064503
	v_rcp_f32_e32 v4, v4                                       // 000000006090: 7E084504
	v_rcp_f32_e32 v5, v5                                       // 000000006094: 7E0A4505
	v_mul_f32_e32 v64, v64, v2                                 // 000000006098: 0A800540
	v_mul_f32_e32 v65, v65, v3                                 // 00000000609C: 0A820741
	v_mul_f32_e32 v66, v66, v4                                 // 0000000060A0: 0A840942
	v_mul_f32_e32 v67, v67, v5                                 // 0000000060A4: 0A860B43
	v_mul_f32_e32 v64, v64, v96                                // 0000000060A8: 0A80C140
	v_mul_f32_e32 v65, v65, v97                                // 0000000060AC: 0A82C341
	v_mul_f32_e32 v66, v66, v98                                // 0000000060B0: 0A84C542
	v_mul_f32_e32 v67, v67, v99                                // 0000000060B4: 0A86C743
	s_waitcnt vmcnt(6)                                         // 0000000060B8: BF8C0F76
	v_mul_f32_e32 v2, v68, v68                                 // 0000000060BC: 0A048944
	v_mul_f32_e32 v3, v69, v69                                 // 0000000060C0: 0A068B45
	v_mul_f32_e32 v4, v70, v70                                 // 0000000060C4: 0A088D46
	v_mul_f32_e32 v5, v71, v71                                 // 0000000060C8: 0A0A8F47
	v_fma_f32 v2, v2, s77, v1                                  // 0000000060CC: D1CB0002 04049B02
	v_fma_f32 v3, v3, s77, v1                                  // 0000000060D4: D1CB0003 04049B03
	v_fma_f32 v4, v4, s77, v1                                  // 0000000060DC: D1CB0004 04049B04
	v_fma_f32 v5, v5, s77, v1                                  // 0000000060E4: D1CB0005 04049B05
	v_mul_f32_e32 v2, v2, v68                                  // 0000000060EC: 0A048902
	v_mul_f32_e32 v3, v3, v69                                  // 0000000060F0: 0A068B03
	v_mul_f32_e32 v4, v4, v70                                  // 0000000060F4: 0A088D04
	v_mul_f32_e32 v5, v5, v71                                  // 0000000060F8: 0A0A8F05
	v_mul_f32_e64 v2, v2, s6                                   // 0000000060FC: D1050002 00000D02
	v_mul_f32_e64 v3, v3, s6                                   // 000000006104: D1050003 00000D03
	v_mul_f32_e64 v4, v4, s6                                   // 00000000610C: D1050004 00000D04
	v_mul_f32_e64 v5, v5, s6                                   // 000000006114: D1050005 00000D05
	v_exp_f32_e32 v2, v2                                       // 00000000611C: 7E044102
	v_exp_f32_e32 v3, v3                                       // 000000006120: 7E064103
	v_exp_f32_e32 v4, v4                                       // 000000006124: 7E084104
	v_exp_f32_e32 v5, v5                                       // 000000006128: 7E0A4105
	v_add_f32_e64 v2, v2, 1.0                                  // 00000000612C: D1010002 0001E502
	v_add_f32_e64 v3, v3, 1.0                                  // 000000006134: D1010003 0001E503
	v_add_f32_e64 v4, v4, 1.0                                  // 00000000613C: D1010004 0001E504
	v_add_f32_e64 v5, v5, 1.0                                  // 000000006144: D1010005 0001E505
	v_rcp_f32_e32 v2, v2                                       // 00000000614C: 7E044502
	v_rcp_f32_e32 v3, v3                                       // 000000006150: 7E064503
	v_rcp_f32_e32 v4, v4                                       // 000000006154: 7E084504
	v_rcp_f32_e32 v5, v5                                       // 000000006158: 7E0A4505
	v_mul_f32_e32 v68, v68, v2                                 // 00000000615C: 0A880544
	v_mul_f32_e32 v69, v69, v3                                 // 000000006160: 0A8A0745
	v_mul_f32_e32 v70, v70, v4                                 // 000000006164: 0A8C0946
	v_mul_f32_e32 v71, v71, v5                                 // 000000006168: 0A8E0B47
	v_mul_f32_e32 v68, v68, v100                               // 00000000616C: 0A88C944
	v_mul_f32_e32 v69, v69, v101                               // 000000006170: 0A8ACB45
	v_mul_f32_e32 v70, v70, v102                               // 000000006174: 0A8CCD46
	v_mul_f32_e32 v71, v71, v103                               // 000000006178: 0A8ECF47
	s_waitcnt vmcnt(6)                                         // 00000000617C: BF8C0F76
	v_mul_f32_e32 v2, v72, v72                                 // 000000006180: 0A049148
	v_mul_f32_e32 v3, v73, v73                                 // 000000006184: 0A069349
	v_mul_f32_e32 v4, v74, v74                                 // 000000006188: 0A08954A
	v_mul_f32_e32 v5, v75, v75                                 // 00000000618C: 0A0A974B
	v_fma_f32 v2, v2, s77, v1                                  // 000000006190: D1CB0002 04049B02
	v_fma_f32 v3, v3, s77, v1                                  // 000000006198: D1CB0003 04049B03
	v_fma_f32 v4, v4, s77, v1                                  // 0000000061A0: D1CB0004 04049B04
	v_fma_f32 v5, v5, s77, v1                                  // 0000000061A8: D1CB0005 04049B05
	v_mul_f32_e32 v2, v2, v72                                  // 0000000061B0: 0A049102
	v_mul_f32_e32 v3, v3, v73                                  // 0000000061B4: 0A069303
	v_mul_f32_e32 v4, v4, v74                                  // 0000000061B8: 0A089504
	v_mul_f32_e32 v5, v5, v75                                  // 0000000061BC: 0A0A9705
	v_mul_f32_e64 v2, v2, s6                                   // 0000000061C0: D1050002 00000D02
	v_mul_f32_e64 v3, v3, s6                                   // 0000000061C8: D1050003 00000D03
	v_mul_f32_e64 v4, v4, s6                                   // 0000000061D0: D1050004 00000D04
	v_mul_f32_e64 v5, v5, s6                                   // 0000000061D8: D1050005 00000D05
	v_exp_f32_e32 v2, v2                                       // 0000000061E0: 7E044102
	v_exp_f32_e32 v3, v3                                       // 0000000061E4: 7E064103
	v_exp_f32_e32 v4, v4                                       // 0000000061E8: 7E084104
	v_exp_f32_e32 v5, v5                                       // 0000000061EC: 7E0A4105
	v_add_f32_e64 v2, v2, 1.0                                  // 0000000061F0: D1010002 0001E502
	v_add_f32_e64 v3, v3, 1.0                                  // 0000000061F8: D1010003 0001E503
	v_add_f32_e64 v4, v4, 1.0                                  // 000000006200: D1010004 0001E504
	v_add_f32_e64 v5, v5, 1.0                                  // 000000006208: D1010005 0001E505
	v_rcp_f32_e32 v2, v2                                       // 000000006210: 7E044502
	v_rcp_f32_e32 v3, v3                                       // 000000006214: 7E064503
	v_rcp_f32_e32 v4, v4                                       // 000000006218: 7E084504
	v_rcp_f32_e32 v5, v5                                       // 00000000621C: 7E0A4505
	v_mul_f32_e32 v72, v72, v2                                 // 000000006220: 0A900548
	v_mul_f32_e32 v73, v73, v3                                 // 000000006224: 0A920749
	v_mul_f32_e32 v74, v74, v4                                 // 000000006228: 0A94094A
	v_mul_f32_e32 v75, v75, v5                                 // 00000000622C: 0A960B4B
	v_mul_f32_e32 v72, v72, v104                               // 000000006230: 0A90D148
	v_mul_f32_e32 v73, v73, v105                               // 000000006234: 0A92D349
	v_mul_f32_e32 v74, v74, v106                               // 000000006238: 0A94D54A
	v_mul_f32_e32 v75, v75, v107                               // 00000000623C: 0A96D74B
	v_lshlrev_b32_e32 v2, 2, v0                                // 000000006240: 24040082
	s_mul_i32 s60, s82, s71                                    // 000000006244: 923C4752
	v_add_u32_e64 v92, v2, s60                                 // 000000006248: D134005C 00007902
	v_mov_b32_e32 v93, 0                                       // 000000006250: 7EBA0280
	s_mul_i32 s60, s83, s71                                    // 000000006254: 923C4753
	v_add_u32_e64 v94, v2, s60                                 // 000000006258: D134005E 00007902
	v_mov_b32_e32 v95, 0                                       // 000000006260: 7EBE0280
	s_mul_i32 s60, s84, s71                                    // 000000006264: 923C4754
	v_add_u32_e64 v96, v2, s60                                 // 000000006268: D1340060 00007902
	v_mov_b32_e32 v97, 0                                       // 000000006270: 7EC20280
	s_mul_i32 s60, s85, s71                                    // 000000006274: 923C4755
	v_add_u32_e64 v98, v2, s60                                 // 000000006278: D1340062 00007902
	v_mov_b32_e32 v99, 0                                       // 000000006280: 7EC60280
	s_mul_i32 s60, s86, s71                                    // 000000006284: 923C4756
	v_add_u32_e64 v100, v2, s60                                // 000000006288: D1340064 00007902
	v_mov_b32_e32 v101, 0                                      // 000000006290: 7ECA0280
	s_mul_i32 s60, s87, s71                                    // 000000006294: 923C4757
	v_add_u32_e64 v102, v2, s60                                // 000000006298: D1340066 00007902
	v_mov_b32_e32 v103, 0                                      // 0000000062A0: 7ECE0280
	s_mul_i32 s60, s88, s71                                    // 0000000062A4: 923C4758
	v_add_u32_e64 v104, v2, s60                                // 0000000062A8: D1340068 00007902
	v_mov_b32_e32 v105, 0                                      // 0000000062B0: 7ED20280
	s_mul_i32 s60, s89, s71                                    // 0000000062B4: 923C4759
	v_add_u32_e64 v106, v2, s60                                // 0000000062B8: D134006A 00007902
	v_mov_b32_e32 v107, 0                                      // 0000000062C0: 7ED60280
	buffer_load_dword v21, v10, s[16:19], 0 offen              // 0000000062C4: E0501000 8004150A
	buffer_load_dword v22, v11, s[16:19], 0 offen              // 0000000062CC: E0501000 8004160B
	v_mov_b32_e32 v31, 0x358637bd                              // 0000000062D4: 7E3E02FF 358637BD
	v_mov_b32_e32 v32, 0x358637bd                              // 0000000062DC: 7E4002FF 358637BD
	v_max3_f32 v31, |v44|, |v45|, v31                          // 0000000062E4: D1D3031F 047E5B2C
	v_max3_f32 v31, |v46|, |v47|, v31                          // 0000000062EC: D1D3031F 047E5F2E
	v_max3_f32 v31, |v48|, |v49|, v31                          // 0000000062F4: D1D3031F 047E6330
	v_max3_f32 v31, |v50|, |v51|, v31                          // 0000000062FC: D1D3031F 047E6732
	v_max3_f32 v32, |v60|, |v61|, v32                          // 000000006304: D1D30320 04827B3C
	v_max3_f32 v32, |v62|, |v63|, v32                          // 00000000630C: D1D30320 04827F3E
	v_max3_f32 v32, |v64|, |v65|, v32                          // 000000006314: D1D30320 04828340
	v_max3_f32 v32, |v66|, |v67|, v32                          // 00000000631C: D1D30320 04828742
	v_mov_b32_e32 v2, v31                                      // 000000006324: 7E04031F
	s_nop 1                                                    // 000000006328: BF800001
	v_permlane32_swap_b32_e32 v2, v31                          // 00000000632C: 7E04B51F
	v_max_f32_e32 v31, v2, v31                                 // 000000006330: 163E3F02
	v_mov_b32_e32 v2, v31                                      // 000000006334: 7E04031F
	s_nop 1                                                    // 000000006338: BF800001
	v_permlane16_swap_b32_e32 v2, v31                          // 00000000633C: 7E04B31F
	v_max_f32_e32 v31, v2, v31                                 // 000000006340: 163E3F02
	v_mov_b32_e32 v2, v32                                      // 000000006344: 7E040320
	s_nop 1                                                    // 000000006348: BF800001
	v_permlane32_swap_b32_e32 v2, v32                          // 00000000634C: 7E04B520
	v_max_f32_e32 v32, v2, v32                                 // 000000006350: 16404102
	v_mov_b32_e32 v2, v32                                      // 000000006354: 7E040320
	s_nop 1                                                    // 000000006358: BF800001
	v_permlane16_swap_b32_e32 v2, v32                          // 00000000635C: 7E04B320
	v_max_f32_e32 v32, v2, v32                                 // 000000006360: 16404102
	v_mov_b32_e32 v2, 0x3e800000                               // 000000006364: 7E0402FF 3E800000
	v_mul_f32_e32 v31, v2, v31                                 // 00000000636C: 0A3E3F02
	v_mul_f32_e32 v32, v2, v32                                 // 000000006370: 0A404102
	v_mov_b32_e32 v1, 0x7fff0000                               // 000000006374: 7E0202FF 7FFF0000
	v_mov_b32_e32 v5, 0x7fbfffff                               // 00000000637C: 7E0A02FF 7FBFFFFF
	v_bfe_u32 v2, v31, 22, 1                                   // 000000006384: D1C80002 02052D1F
	v_and_b32_e32 v3, v31, v5                                  // 00000000638C: 26060B1F
	v_cmp_eq_u32_e64 s[60:61], v3, 0                           // 000000006390: D0CA003C 00010103
	v_cndmask_b32_e64 v4, 1, 0, s[60:61]                       // 000000006398: D1000004 00F10081
	v_and_b32_e32 v4, v4, v2                                   // 0000000063A0: 26080504
	v_bfe_u32 v5, v31, 23, 8                                   // 0000000063A4: D1C80005 02212F1F
	v_add_u32_e32 v5, v5, v4                                   // 0000000063AC: 680A0905
	v_cmp_u_f32_e64 s[60:61], v31, v31                         // 0000000063B0: D048003C 00023F1F
	v_lshlrev_b32_e32 v31, 23, v5                              // 0000000063B8: 243E0A97
	v_cndmask_b32_e64 v31, v31, v1, s[60:61]                   // 0000000063BC: D100001F 00F2031F
	v_mov_b32_e32 v5, 0x7fbfffff                               // 0000000063C4: 7E0A02FF 7FBFFFFF
	v_bfe_u32 v2, v32, 22, 1                                   // 0000000063CC: D1C80002 02052D20
	v_and_b32_e32 v3, v32, v5                                  // 0000000063D4: 26060B20
	v_cmp_eq_u32_e64 s[60:61], v3, 0                           // 0000000063D8: D0CA003C 00010103
	v_cndmask_b32_e64 v4, 1, 0, s[60:61]                       // 0000000063E0: D1000004 00F10081
	v_and_b32_e32 v4, v4, v2                                   // 0000000063E8: 26080504
	v_bfe_u32 v5, v32, 23, 8                                   // 0000000063EC: D1C80005 02212F20
	v_add_u32_e32 v5, v5, v4                                   // 0000000063F4: 680A0905
	v_cmp_u_f32_e64 s[60:61], v32, v32                         // 0000000063F8: D048003C 00024120
	v_lshlrev_b32_e32 v32, 23, v5                              // 000000006400: 24400A97
	v_cndmask_b32_e64 v32, v32, v1, s[60:61]                   // 000000006404: D1000020 00F20320
	s_mov_b32 s60, 0xffff                                      // 00000000640C: BEBC00FF 0000FFFF
	v_cvt_scalef32_pk_fp4_f32 v44, v44, v45, v31               // 000000006414: D23D002C 047E5B2C
	v_cvt_scalef32_pk_fp4_f32 v44, v46, v47, v31 op_sel:[0,0,1,0]// 00000000641C: D23D202C 047E5F2E
	v_cvt_scalef32_pk_fp4_f32 v48, v48, v49, v31               // 000000006424: D23D0030 047E6330
	v_cvt_scalef32_pk_fp4_f32 v48, v50, v51, v31 op_sel:[0,0,1,0]// 00000000642C: D23D2030 047E6732
	s_nop 1                                                    // 000000006434: BF800001
	v_permlane16_swap_b32_e32 v44, v48                         // 000000006438: 7E58B330
	s_nop 1                                                    // 00000000643C: BF800001
	v_and_b32_e64 v44, v44, s60                                // 000000006440: D113002C 0000792C
	v_lshlrev_b32_e32 v48, 16, v48                             // 000000006448: 24606090
	v_or_b32_e32 v44, v44, v48                                 // 00000000644C: 2858612C
	v_mov_b32_e32 v48, v44                                     // 000000006450: 7E60032C
	s_nop 1                                                    // 000000006454: BF800001
	v_permlane32_swap_b32_e32 v44, v48                         // 000000006458: 7E58B530
	s_nop 1                                                    // 00000000645C: BF800001
	v_permlane16_swap_b32_e32 v44, v48                         // 000000006460: 7E58B330
	s_nop 1                                                    // 000000006464: BF800001
	v_permlane32_swap_b32_e32 v44, v48                         // 000000006468: 7E58B530
	s_nop 1                                                    // 00000000646C: BF800001
	v_cvt_scalef32_pk_fp4_f32 v60, v60, v61, v32               // 000000006470: D23D003C 04827B3C
	v_cvt_scalef32_pk_fp4_f32 v60, v62, v63, v32 op_sel:[0,0,1,0]// 000000006478: D23D203C 04827F3E
	v_cvt_scalef32_pk_fp4_f32 v64, v64, v65, v32               // 000000006480: D23D0040 04828340
	v_cvt_scalef32_pk_fp4_f32 v64, v66, v67, v32 op_sel:[0,0,1,0]// 000000006488: D23D2040 04828742
	s_nop 1                                                    // 000000006490: BF800001
	v_permlane16_swap_b32_e32 v60, v64                         // 000000006494: 7E78B340
	s_nop 1                                                    // 000000006498: BF800001
	v_and_b32_e64 v60, v60, s60                                // 00000000649C: D113003C 0000793C
	v_lshlrev_b32_e32 v64, 16, v64                             // 0000000064A4: 24808090
	v_or_b32_e32 v60, v60, v64                                 // 0000000064A8: 2878813C
	v_mov_b32_e32 v64, v60                                     // 0000000064AC: 7E80033C
	s_nop 1                                                    // 0000000064B0: BF800001
	v_permlane32_swap_b32_e32 v60, v64                         // 0000000064B4: 7E78B540
	s_nop 1                                                    // 0000000064B8: BF800001
	v_permlane16_swap_b32_e32 v60, v64                         // 0000000064BC: 7E78B340
	s_nop 1                                                    // 0000000064C0: BF800001
	v_permlane32_swap_b32_e32 v60, v64                         // 0000000064C4: 7E78B540
	s_nop 1                                                    // 0000000064C8: BF800001
	v_mov_b32_e32 v33, 0x358637bd                              // 0000000064CC: 7E4202FF 358637BD
	v_mov_b32_e32 v34, 0x358637bd                              // 0000000064D4: 7E4402FF 358637BD
	v_max3_f32 v33, |v52|, |v53|, v33                          // 0000000064DC: D1D30321 04866B34
	v_max3_f32 v33, |v54|, |v55|, v33                          // 0000000064E4: D1D30321 04866F36
	v_max3_f32 v33, |v56|, |v57|, v33                          // 0000000064EC: D1D30321 04867338
	v_max3_f32 v33, |v58|, |v59|, v33                          // 0000000064F4: D1D30321 0486773A
	v_max3_f32 v34, |v68|, |v69|, v34                          // 0000000064FC: D1D30322 048A8B44
	v_max3_f32 v34, |v70|, |v71|, v34                          // 000000006504: D1D30322 048A8F46
	v_max3_f32 v34, |v72|, |v73|, v34                          // 00000000650C: D1D30322 048A9348
	v_max3_f32 v34, |v74|, |v75|, v34                          // 000000006514: D1D30322 048A974A
	v_mov_b32_e32 v2, v33                                      // 00000000651C: 7E040321
	s_nop 1                                                    // 000000006520: BF800001
	v_permlane32_swap_b32_e32 v2, v33                          // 000000006524: 7E04B521
	v_max_f32_e32 v33, v2, v33                                 // 000000006528: 16424302
	v_mov_b32_e32 v2, v33                                      // 00000000652C: 7E040321
	s_nop 1                                                    // 000000006530: BF800001
	v_permlane16_swap_b32_e32 v2, v33                          // 000000006534: 7E04B321
	v_max_f32_e32 v33, v2, v33                                 // 000000006538: 16424302
	v_mov_b32_e32 v2, v34                                      // 00000000653C: 7E040322
	s_nop 1                                                    // 000000006540: BF800001
	v_permlane32_swap_b32_e32 v2, v34                          // 000000006544: 7E04B522
	v_max_f32_e32 v34, v2, v34                                 // 000000006548: 16444502
	v_mov_b32_e32 v2, v34                                      // 00000000654C: 7E040322
	s_nop 1                                                    // 000000006550: BF800001
	v_permlane16_swap_b32_e32 v2, v34                          // 000000006554: 7E04B322
	v_max_f32_e32 v34, v2, v34                                 // 000000006558: 16444502
	v_mov_b32_e32 v2, 0x3e800000                               // 00000000655C: 7E0402FF 3E800000
	v_mul_f32_e32 v33, v2, v33                                 // 000000006564: 0A424302
	v_mul_f32_e32 v34, v2, v34                                 // 000000006568: 0A444502
	v_mov_b32_e32 v1, 0x7fff0000                               // 00000000656C: 7E0202FF 7FFF0000
	v_mov_b32_e32 v5, 0x7fbfffff                               // 000000006574: 7E0A02FF 7FBFFFFF
	v_bfe_u32 v2, v33, 22, 1                                   // 00000000657C: D1C80002 02052D21
	v_and_b32_e32 v3, v33, v5                                  // 000000006584: 26060B21
	v_cmp_eq_u32_e64 s[60:61], v3, 0                           // 000000006588: D0CA003C 00010103
	v_cndmask_b32_e64 v4, 1, 0, s[60:61]                       // 000000006590: D1000004 00F10081
	v_and_b32_e32 v4, v4, v2                                   // 000000006598: 26080504
	v_bfe_u32 v5, v33, 23, 8                                   // 00000000659C: D1C80005 02212F21
	v_add_u32_e32 v5, v5, v4                                   // 0000000065A4: 680A0905
	v_cmp_u_f32_e64 s[60:61], v33, v33                         // 0000000065A8: D048003C 00024321
	v_lshlrev_b32_e32 v33, 23, v5                              // 0000000065B0: 24420A97
	v_cndmask_b32_e64 v33, v33, v1, s[60:61]                   // 0000000065B4: D1000021 00F20321
	v_mov_b32_e32 v5, 0x7fbfffff                               // 0000000065BC: 7E0A02FF 7FBFFFFF
	v_bfe_u32 v2, v34, 22, 1                                   // 0000000065C4: D1C80002 02052D22
	v_and_b32_e32 v3, v34, v5                                  // 0000000065CC: 26060B22
	v_cmp_eq_u32_e64 s[60:61], v3, 0                           // 0000000065D0: D0CA003C 00010103
	v_cndmask_b32_e64 v4, 1, 0, s[60:61]                       // 0000000065D8: D1000004 00F10081
	v_and_b32_e32 v4, v4, v2                                   // 0000000065E0: 26080504
	v_bfe_u32 v5, v34, 23, 8                                   // 0000000065E4: D1C80005 02212F22
	v_add_u32_e32 v5, v5, v4                                   // 0000000065EC: 680A0905
	v_cmp_u_f32_e64 s[60:61], v34, v34                         // 0000000065F0: D048003C 00024522
	v_lshlrev_b32_e32 v34, 23, v5                              // 0000000065F8: 24440A97
	v_cndmask_b32_e64 v34, v34, v1, s[60:61]                   // 0000000065FC: D1000022 00F20322
	s_mov_b32 s60, 0xffff                                      // 000000006604: BEBC00FF 0000FFFF
	v_cvt_scalef32_pk_fp4_f32 v52, v52, v53, v33               // 00000000660C: D23D0034 04866B34
	v_cvt_scalef32_pk_fp4_f32 v52, v54, v55, v33 op_sel:[0,0,1,0]// 000000006614: D23D2034 04866F36
	v_cvt_scalef32_pk_fp4_f32 v56, v56, v57, v33               // 00000000661C: D23D0038 04867338
	v_cvt_scalef32_pk_fp4_f32 v56, v58, v59, v33 op_sel:[0,0,1,0]// 000000006624: D23D2038 0486773A
	s_nop 1                                                    // 00000000662C: BF800001
	v_permlane16_swap_b32_e32 v52, v56                         // 000000006630: 7E68B338
	s_nop 1                                                    // 000000006634: BF800001
	v_and_b32_e64 v52, v52, s60                                // 000000006638: D1130034 00007934
	v_lshlrev_b32_e32 v56, 16, v56                             // 000000006640: 24707090
	v_or_b32_e32 v52, v52, v56                                 // 000000006644: 28687134
	v_mov_b32_e32 v56, v52                                     // 000000006648: 7E700334
	s_nop 1                                                    // 00000000664C: BF800001
	v_permlane32_swap_b32_e32 v52, v56                         // 000000006650: 7E68B538
	s_nop 1                                                    // 000000006654: BF800001
	v_permlane16_swap_b32_e32 v52, v56                         // 000000006658: 7E68B338
	s_nop 1                                                    // 00000000665C: BF800001
	v_permlane32_swap_b32_e32 v52, v56                         // 000000006660: 7E68B538
	s_nop 1                                                    // 000000006664: BF800001
	v_cvt_scalef32_pk_fp4_f32 v68, v68, v69, v34               // 000000006668: D23D0044 048A8B44
	v_cvt_scalef32_pk_fp4_f32 v68, v70, v71, v34 op_sel:[0,0,1,0]// 000000006670: D23D2044 048A8F46
	v_cvt_scalef32_pk_fp4_f32 v72, v72, v73, v34               // 000000006678: D23D0048 048A9348
	v_cvt_scalef32_pk_fp4_f32 v72, v74, v75, v34 op_sel:[0,0,1,0]// 000000006680: D23D2048 048A974A
	s_nop 1                                                    // 000000006688: BF800001
	v_permlane16_swap_b32_e32 v68, v72                         // 00000000668C: 7E88B348
	s_nop 1                                                    // 000000006690: BF800001
	v_and_b32_e64 v68, v68, s60                                // 000000006694: D1130044 00007944
	v_lshlrev_b32_e32 v72, 16, v72                             // 00000000669C: 24909090
	v_or_b32_e32 v68, v68, v72                                 // 0000000066A0: 28889144
	v_mov_b32_e32 v72, v68                                     // 0000000066A4: 7E900344
	s_nop 1                                                    // 0000000066A8: BF800001
	v_permlane32_swap_b32_e32 v68, v72                         // 0000000066AC: 7E88B548
	s_nop 1                                                    // 0000000066B0: BF800001
	v_permlane16_swap_b32_e32 v68, v72                         // 0000000066B4: 7E88B348
	s_nop 1                                                    // 0000000066B8: BF800001
	v_permlane32_swap_b32_e32 v68, v72                         // 0000000066BC: 7E88B548
	s_nop 1                                                    // 0000000066C0: BF800001
	v_lshrrev_b32_e32 v2, 5, v0                                // 0000000066C4: 20040085
	v_lshlrev_b32_e32 v3, 6, v2                                // 0000000066C8: 24060486
	v_and_b32_e32 v2, 31, v0                                   // 0000000066CC: 2604009F
	v_lshrrev_b32_e32 v4, 4, v2                                // 0000000066D0: 20080484
	v_add_u32_e32 v3, v4, v3                                   // 0000000066D4: 68060704
	v_and_b32_e32 v2, 15, v0                                   // 0000000066D8: 2604008F
	v_lshlrev_b32_e32 v2, 1, v2                                // 0000000066DC: 24040481
	v_add_u32_e32 v3, v2, v3                                   // 0000000066E0: 68060702
	v_lshlrev_b32_e32 v2, 2, v3                                // 0000000066E4: 24040682
	s_mov_b32 s60, 0                                           // 0000000066E8: BEBC0080
	s_lshr_b32 s61, s7, 1                                      // 0000000066EC: 8F3D8107
	s_mul_i32 s61, s61, 0x200                                  // 0000000066F0: 923DFF3D 00000200
	s_add_u32 s60, s61, s60                                    // 0000000066F8: 803C3C3D
	s_and_b32 s61, s7, 1                                       // 0000000066FC: 863D8107
	s_mul_i32 s61, s61, 0x80                                   // 000000006700: 923DFF3D 00000080
	s_add_u32 s60, s61, s60                                    // 000000006708: 803C3C3D
	v_add_u32_e64 v2, v2, s60                                  // 00000000670C: D1340002 00007902
	ds_write_b32 v2, v44                                       // 000000006714: D81A0000 00002C02
	ds_write_b32 v2, v52 offset:1024                           // 00000000671C: D81A0400 00003402
	ds_write_b32 v2, v60 offset:2048                           // 000000006724: D81A0800 00003C02
	ds_write_b32 v2, v68 offset:3072                           // 00000000672C: D81A0C00 00004402
	s_waitcnt lgkmcnt(0)                                       // 000000006734: BF8CC07F
	s_barrier                                                  // 000000006738: BF8A0000
	v_and_b32_e32 v2, 31, v0                                   // 00000000673C: 2604009F
	v_lshrrev_b32_e32 v2, 4, v2                                // 000000006740: 20040484
	v_lshlrev_b32_e32 v3, 5, v2                                // 000000006744: 24060485
	v_lshrrev_b32_e32 v2, 5, v0                                // 000000006748: 20040085
	v_lshlrev_b32_e32 v2, 7, v2                                // 00000000674C: 24040487
	v_add_u32_e32 v3, v2, v3                                   // 000000006750: 68060702
	v_and_b32_e32 v2, 15, v0                                   // 000000006754: 2604008F
	v_lshlrev_b32_e32 v2, 1, v2                                // 000000006758: 24040481
	v_add_u32_e32 v3, v2, v3                                   // 00000000675C: 68060702
	v_lshlrev_b32_e32 v2, 2, v3                                // 000000006760: 24040682
	ds_read_b64 v[44:45], v2                                   // 000000006764: D8EC0000 2C000002
	ds_read_b64 v[46:47], v2 offset:256                        // 00000000676C: D8EC0100 2E000002
	ds_read_b64 v[48:49], v2 offset:1024                       // 000000006774: D8EC0400 30000002
	ds_read_b64 v[50:51], v2 offset:1280                       // 00000000677C: D8EC0500 32000002
	ds_read_b64 v[52:53], v2 offset:2048                       // 000000006784: D8EC0800 34000002
	ds_read_b64 v[54:55], v2 offset:2304                       // 00000000678C: D8EC0900 36000002
	ds_read_b64 v[56:57], v2 offset:3072                       // 000000006794: D8EC0C00 38000002
	ds_read_b64 v[58:59], v2 offset:3328                       // 00000000679C: D8EC0D00 3A000002
	s_waitcnt lgkmcnt(0)                                       // 0000000067A4: BF8CC07F
	s_barrier                                                  // 0000000067A8: BF8A0000
	v_lshrrev_b32_e32 v2, 5, v0                                // 0000000067AC: 20040085
	v_lshlrev_b32_e32 v3, 6, v2                                // 0000000067B0: 24060486
	v_and_b32_e32 v2, 31, v0                                   // 0000000067B4: 2604009F
	v_lshrrev_b32_e32 v4, 4, v2                                // 0000000067B8: 20080484
	v_add_u32_e32 v3, v4, v3                                   // 0000000067BC: 68060704
	v_and_b32_e32 v2, 15, v0                                   // 0000000067C0: 2604008F
	v_lshlrev_b32_e32 v2, 1, v2                                // 0000000067C4: 24040481
	v_add_u32_e32 v3, v2, v3                                   // 0000000067C8: 68060702
	v_lshlrev_b32_e32 v2, 2, v3                                // 0000000067CC: 24040682
	s_mov_b32 s60, 0                                           // 0000000067D0: BEBC0080
	s_lshr_b32 s61, s7, 1                                      // 0000000067D4: 8F3D8107
	s_mul_i32 s61, s61, 0x200                                  // 0000000067D8: 923DFF3D 00000200
	s_add_u32 s60, s61, s60                                    // 0000000067E0: 803C3C3D
	s_and_b32 s61, s7, 1                                       // 0000000067E4: 863D8107
	s_mul_i32 s61, s61, 0x80                                   // 0000000067E8: 923DFF3D 00000080
	s_add_u32 s60, s61, s60                                    // 0000000067F0: 803C3C3D
	v_add_u32_e64 v2, v2, s60                                  // 0000000067F4: D1340002 00007902
	ds_write_b32 v2, v31                                       // 0000000067FC: D81A0000 00001F02
	ds_write_b32 v2, v33 offset:1024                           // 000000006804: D81A0400 00002102
	ds_write_b32 v2, v32 offset:2048                           // 00000000680C: D81A0800 00002002
	ds_write_b32 v2, v34 offset:3072                           // 000000006814: D81A0C00 00002202
	s_waitcnt lgkmcnt(0)                                       // 00000000681C: BF8CC07F
	s_barrier                                                  // 000000006820: BF8A0000
	v_and_b32_e32 v2, 31, v0                                   // 000000006824: 2604009F
	v_lshrrev_b32_e32 v2, 4, v2                                // 000000006828: 20040484
	v_lshlrev_b32_e32 v3, 5, v2                                // 00000000682C: 24060485
	v_lshrrev_b32_e32 v2, 5, v0                                // 000000006830: 20040085
	v_lshlrev_b32_e32 v2, 7, v2                                // 000000006834: 24040487
	v_add_u32_e32 v3, v2, v3                                   // 000000006838: 68060702
	v_and_b32_e32 v2, 15, v0                                   // 00000000683C: 2604008F
	v_lshlrev_b32_e32 v2, 1, v2                                // 000000006840: 24040481
	v_add_u32_e32 v3, v2, v3                                   // 000000006844: 68060702
	v_lshlrev_b32_e32 v2, 2, v3                                // 000000006848: 24040682
	ds_read_b32 v31, v2                                        // 00000000684C: D86C0000 1F000002
	ds_read_b32 v33, v2 offset:1024                            // 000000006854: D86C0400 21000002
	ds_read_b32 v32, v2 offset:2048                            // 00000000685C: D86C0800 20000002
	ds_read_b32 v34, v2 offset:3072                            // 000000006864: D86C0C00 22000002
	s_waitcnt lgkmcnt(0)                                       // 00000000686C: BF8CC07F
	s_barrier                                                  // 000000006870: BF8A0000
	v_bfe_u32 v31, v31, 23, 8                                  // 000000006874: D1C8001F 02212F1F
	v_bfe_u32 v32, v32, 23, 8                                  // 00000000687C: D1C80020 02212F20
	v_bfe_u32 v33, v33, 23, 8                                  // 000000006884: D1C80021 02212F21
	v_bfe_u32 v34, v34, 23, 8                                  // 00000000688C: D1C80022 02212F22
	v_mov_b32_e32 v2, 0                                        // 000000006894: 7E040280
	v_lshlrev_b32_e32 v31, 0, v31                              // 000000006898: 243E3E80
	v_or_b32_e32 v2, v2, v31                                   // 00000000689C: 28043F02
	v_lshlrev_b32_e32 v32, 8, v32                              // 0000000068A0: 24404088
	v_or_b32_e32 v2, v2, v32                                   // 0000000068A4: 28044102
	v_lshlrev_b32_e32 v33, 16, v33                             // 0000000068A8: 24424290
	v_or_b32_e32 v2, v2, v33                                   // 0000000068AC: 28044302
	v_lshlrev_b32_e32 v34, 24, v34                             // 0000000068B0: 24444498
	v_or_b32_e32 v2, v2, v34                                   // 0000000068B4: 28044502
	v_mov_b32_e32 v31, v2                                      // 0000000068B8: 7E3E0302
	s_add_u32 s12, s56, s12                                    // 0000000068BC: 800C0C38
	s_addc_u32 s13, 0, s13                                     // 0000000068C0: 820D0D80
	s_add_u32 s16, s79, s16                                    // 0000000068C4: 8010104F
	s_addc_u32 s17, 0, s17                                     // 0000000068C8: 82111180
	s_waitcnt lgkmcnt(0)                                       // 0000000068CC: BF8CC07F
	s_barrier                                                  // 0000000068D0: BF8A0000
	v_mov_b32_e32 v108, 0                                      // 0000000068D4: 7ED80280
	v_mov_b32_e32 v140, 0                                      // 0000000068D8: 7F180280
	v_mov_b32_e32 v109, 0                                      // 0000000068DC: 7EDA0280
	v_mov_b32_e32 v141, 0                                      // 0000000068E0: 7F1A0280
	v_mov_b32_e32 v110, 0                                      // 0000000068E4: 7EDC0280
	v_mov_b32_e32 v142, 0                                      // 0000000068E8: 7F1C0280
	v_mov_b32_e32 v111, 0                                      // 0000000068EC: 7EDE0280
	v_mov_b32_e32 v143, 0                                      // 0000000068F0: 7F1E0280
	v_mov_b32_e32 v112, 0                                      // 0000000068F4: 7EE00280
	v_mov_b32_e32 v144, 0                                      // 0000000068F8: 7F200280
	v_mov_b32_e32 v113, 0                                      // 0000000068FC: 7EE20280
	v_mov_b32_e32 v145, 0                                      // 000000006900: 7F220280
	v_mov_b32_e32 v114, 0                                      // 000000006904: 7EE40280
	v_mov_b32_e32 v146, 0                                      // 000000006908: 7F240280
	v_mov_b32_e32 v115, 0                                      // 00000000690C: 7EE60280
	v_mov_b32_e32 v147, 0                                      // 000000006910: 7F260280
	v_mov_b32_e32 v116, 0                                      // 000000006914: 7EE80280
	v_mov_b32_e32 v148, 0                                      // 000000006918: 7F280280
	v_mov_b32_e32 v117, 0                                      // 00000000691C: 7EEA0280
	v_mov_b32_e32 v149, 0                                      // 000000006920: 7F2A0280
	v_mov_b32_e32 v118, 0                                      // 000000006924: 7EEC0280
	v_mov_b32_e32 v150, 0                                      // 000000006928: 7F2C0280
	v_mov_b32_e32 v119, 0                                      // 00000000692C: 7EEE0280
	v_mov_b32_e32 v151, 0                                      // 000000006930: 7F2E0280
	v_mov_b32_e32 v120, 0                                      // 000000006934: 7EF00280
	v_mov_b32_e32 v152, 0                                      // 000000006938: 7F300280
	v_mov_b32_e32 v121, 0                                      // 00000000693C: 7EF20280
	v_mov_b32_e32 v153, 0                                      // 000000006940: 7F320280
	v_mov_b32_e32 v122, 0                                      // 000000006944: 7EF40280
	v_mov_b32_e32 v154, 0                                      // 000000006948: 7F340280
	v_mov_b32_e32 v123, 0                                      // 00000000694C: 7EF60280
	v_mov_b32_e32 v155, 0                                      // 000000006950: 7F360280
	ds_write_b64 v8, v[108:109]                                // 000000006954: D89A0000 00006C08
	ds_write_b64 v8, v[110:111] offset:8704                    // 00000000695C: D89A2200 00006E08
	ds_write_b64 v8, v[112:113] offset:544                     // 000000006964: D89A0220 00007008
	ds_write_b64 v8, v[114:115] offset:9248                    // 00000000696C: D89A2420 00007208
	ds_write_b64 v8, v[116:117] offset:4352                    // 000000006974: D89A1100 00007408
	ds_write_b64 v8, v[118:119] offset:13056                   // 00000000697C: D89A3300 00007608
	ds_write_b64 v8, v[120:121] offset:4896                    // 000000006984: D89A1320 00007808
	ds_write_b64 v8, v[122:123] offset:13600                   // 00000000698C: D89A3520 00007A08
	s_mov_b32 s80, 0                                           // 000000006994: BED00080
	s_waitcnt vmcnt(0) expcnt(0) lgkmcnt(0)                    // 000000006998: BF8C0000

000000000000699c <label_0EE7>:
	s_waitcnt vmcnt(22) lgkmcnt(0)                             // 00000000699C: BF8C4076
	s_barrier                                                  // 0000000069A0: BF8A0000
	v_mfma_scale_f32_16x16x128_f8f6f4 v[108:111], a[0:3], v[44:47], 0, v21, v31 op_sel_hi:[0,0,0] cbsz:4 blgp:4// 0000000069A4: D3AC6000 00023F15 D3AD0C6C 8A025900
	buffer_load_dwordx4 a[32:35], v40, s[12:15], 0 offen       // 0000000069B4: E05C1000 80832028
	v_mfma_scale_f32_16x16x128_f8f6f4 v[112:115], a[0:3], v[52:55], 0, v21, v31 op_sel_hi:[0,0,0] cbsz:4 blgp:4// 0000000069BC: D3AC7000 00023F15 D3AD0C70 8A026900
	ds_read_b32 v76, v9                                        // 0000000069CC: D86C0000 4C000009
	ds_read_b32 v77, v9 offset:4352                            // 0000000069D4: D86C1100 4D000009
	ds_read_b32 v78, v9 offset:8                               // 0000000069DC: D86C0008 4E000009
	ds_read_b32 v79, v9 offset:4360                            // 0000000069E4: D86C1108 4F000009
	v_mfma_scale_f32_16x16x128_f8f6f4 v[116:119], a[4:7], v[44:47], 0, v21, v31 op_sel_hi:[0,0,0] cbsz:4 blgp:4// 0000000069EC: D3AC6800 00023F15 D3AD0C74 8A025904
	buffer_load_dwordx4 a[36:39], v41, s[12:15], 0 offen       // 0000000069FC: E05C1000 80832429
	buffer_load_dword v23, v10, s[16:19], 0 offen              // 000000006A04: E0501000 8004170A
	buffer_load_dword v24, v11, s[16:19], 0 offen              // 000000006A0C: E0501000 8004180B
	v_mfma_scale_f32_16x16x128_f8f6f4 v[120:123], a[4:7], v[52:55], 0, v21, v31 op_sel_hi:[0,0,0] cbsz:4 blgp:4// 000000006A14: D3AC7800 00023F15 D3AD0C78 8A026904
	ds_read_b32 v80, v9 offset:32                              // 000000006A24: D86C0020 50000009
	ds_read_b32 v81, v9 offset:4384                            // 000000006A2C: D86C1120 51000009
	ds_read_b32 v82, v9 offset:40                              // 000000006A34: D86C0028 52000009
	ds_read_b32 v83, v9 offset:4392                            // 000000006A3C: D86C1128 53000009
	s_waitcnt vmcnt(24)                                        // 000000006A44: BF8C4F78
	v_mfma_scale_f32_16x16x128_f8f6f4 v[124:127], a[8:11], v[44:47], 0, v22, v31 op_sel_hi:[0,0,0] cbsz:4 blgp:4// 000000006A48: D3AC6000 00023F16 D3AD0C7C 8A025908
	buffer_load_dwordx4 a[40:43], v42, s[12:15], 0 offen       // 000000006A58: E05C1000 8083282A
	v_mfma_scale_f32_16x16x128_f8f6f4 v[128:131], a[8:11], v[52:55], 0, v22, v31 op_sel_hi:[0,0,0] cbsz:4 blgp:4// 000000006A60: D3AC7000 00023F16 D3AD0C80 8A026908
	ds_read_b32 v84, v9 offset:8704                            // 000000006A70: D86C2200 54000009
	ds_read_b32 v85, v9 offset:13056                           // 000000006A78: D86C3300 55000009
	ds_read_b32 v86, v9 offset:8712                            // 000000006A80: D86C2208 56000009
	ds_read_b32 v87, v9 offset:13064                           // 000000006A88: D86C3308 57000009
	v_mfma_scale_f32_16x16x128_f8f6f4 v[132:135], a[12:15], v[44:47], 0, v22, v31 op_sel_hi:[0,0,0] cbsz:4 blgp:4// 000000006A90: D3AC6800 00023F16 D3AD0C84 8A02590C
	buffer_load_dwordx4 a[44:47], v43, s[12:15], 0 offen       // 000000006AA0: E05C1000 80832C2B
	v_mfma_scale_f32_16x16x128_f8f6f4 v[136:139], a[12:15], v[52:55], 0, v22, v31 op_sel_hi:[0,0,0] cbsz:4 blgp:4// 000000006AA8: D3AC7800 00023F16 D3AD0C88 8A02690C
	ds_read_b32 v88, v9 offset:8736                            // 000000006AB8: D86C2220 58000009
	ds_read_b32 v89, v9 offset:13088                           // 000000006AC0: D86C3320 59000009
	ds_read_b32 v90, v9 offset:8744                            // 000000006AC8: D86C2228 5A000009
	ds_read_b32 v91, v9 offset:13096                           // 000000006AD0: D86C3328 5B000009
	s_waitcnt vmcnt(24)                                        // 000000006AD8: BF8C4F78
	v_mfma_scale_f32_16x16x128_f8f6f4 v[108:111], a[16:19], v[48:51], v[108:111], v21, v31 op_sel_hi:[0,0,0] cbsz:4 blgp:4// 000000006ADC: D3AC6000 18023F15 D3AD0C6C 8DB26110
	buffer_load_dwordx4 a[48:51], v40, s[12:15], 0 offen offset:1024// 000000006AEC: E05C1400 80833028
	v_mfma_scale_f32_16x16x128_f8f6f4 v[112:115], a[16:19], v[56:59], v[112:115], v21, v31 op_sel_hi:[0,0,0] cbsz:4 blgp:4// 000000006AF4: D3AC7000 18023F15 D3AD0C70 8DC27110
	ds_write_b64 v8, v[140:141] offset:17408                   // 000000006B04: D89A4400 00008C08
	ds_write_b64 v8, v[142:143] offset:26112                   // 000000006B0C: D89A6600 00008E08
	v_mfma_scale_f32_16x16x128_f8f6f4 v[116:119], a[20:23], v[48:51], v[116:119], v21, v31 op_sel_hi:[0,0,0] cbsz:4 blgp:4// 000000006B14: D3AC6800 18023F15 D3AD0C74 8DD26114
	buffer_load_dwordx4 a[52:55], v41, s[12:15], 0 offen offset:1024// 000000006B24: E05C1400 80833429
	v_mfma_scale_f32_16x16x128_f8f6f4 v[120:123], a[20:23], v[56:59], v[120:123], v21, v31 op_sel_hi:[0,0,0] cbsz:4 blgp:4// 000000006B2C: D3AC7800 18023F15 D3AD0C78 8DE27114
	ds_write_b64 v8, v[144:145] offset:17952                   // 000000006B3C: D89A4620 00009008
	ds_write_b64 v8, v[146:147] offset:26656                   // 000000006B44: D89A6820 00009208
	s_waitcnt vmcnt(24)                                        // 000000006B4C: BF8C4F78
	v_mfma_scale_f32_16x16x128_f8f6f4 v[124:127], a[24:27], v[48:51], v[124:127], v22, v31 op_sel_hi:[0,0,0] cbsz:4 blgp:4// 000000006B50: D3AC6000 18023F16 D3AD0C7C 8DF26118
	buffer_load_dwordx4 a[56:59], v42, s[12:15], 0 offen offset:1024// 000000006B60: E05C1400 8083382A
	v_mfma_scale_f32_16x16x128_f8f6f4 v[128:131], a[24:27], v[56:59], v[128:131], v22, v31 op_sel_hi:[0,0,0] cbsz:4 blgp:4// 000000006B68: D3AC7000 18023F16 D3AD0C80 8E027118
	ds_write_b64 v8, v[148:149] offset:21760                   // 000000006B78: D89A5500 00009408
	ds_write_b64 v8, v[150:151] offset:30464                   // 000000006B80: D89A7700 00009608
	v_mfma_scale_f32_16x16x128_f8f6f4 v[132:135], a[28:31], v[48:51], v[132:135], v22, v31 op_sel_hi:[0,0,0] cbsz:4 blgp:4// 000000006B88: D3AC6800 18023F16 D3AD0C84 8E12611C
	buffer_load_dwordx4 a[60:63], v43, s[12:15], 0 offen offset:1024// 000000006B98: E05C1400 80833C2B
	v_mfma_scale_f32_16x16x128_f8f6f4 v[136:139], a[28:31], v[56:59], v[136:139], v22, v31 op_sel_hi:[0,0,0] cbsz:4 blgp:4// 000000006BA0: D3AC7800 18023F16 D3AD0C88 8E22711C
	ds_write_b64 v8, v[152:153] offset:22304                   // 000000006BB0: D89A5720 00009808
	ds_write_b64 v8, v[154:155] offset:31008                   // 000000006BB8: D89A7920 00009A08
	s_add_u32 s60, 0x200, s80                                  // 000000006BC0: 803C50FF 00000200
	s_cmp_lt_u32 s60, s81                                      // 000000006BC8: BF0A513C
	s_cselect_b32 s56, s56, 0                                  // 000000006BCC: 85388038
	s_cselect_b32 s78, s78, 0                                  // 000000006BD0: 854E804E
	s_cselect_b32 s79, s79, 0                                  // 000000006BD4: 854F804F
	s_add_u32 s12, s56, s12                                    // 000000006BD8: 800C0C38
	s_addc_u32 s13, 0, s13                                     // 000000006BDC: 820D0D80
	s_add_u32 s16, s79, s16                                    // 000000006BE0: 8010104F
	s_addc_u32 s17, 0, s17                                     // 000000006BE4: 82111180
	v_mov_b32_e32 v2, v29                                      // 000000006BE8: 7E04031D
	v_mov_b32_e32 v3, v29                                      // 000000006BEC: 7E06031D
	v_pk_mul_f32 v[108:109], v[2:3], v[108:109]                // 000000006BF0: D3B1406C 1802D902
	v_pk_mul_f32 v[110:111], v[2:3], v[110:111]                // 000000006BF8: D3B1406E 1802DD02
	v_pk_mul_f32 v[116:117], v[2:3], v[116:117]                // 000000006C00: D3B14074 1802E902
	v_pk_mul_f32 v[118:119], v[2:3], v[118:119]                // 000000006C08: D3B14076 1802ED02
	v_pk_mul_f32 v[124:125], v[2:3], v[124:125]                // 000000006C10: D3B1407C 1802F902
	v_pk_mul_f32 v[126:127], v[2:3], v[126:127]                // 000000006C18: D3B1407E 1802FD02
	v_pk_mul_f32 v[132:133], v[2:3], v[132:133]                // 000000006C20: D3B14084 18030902
	v_pk_mul_f32 v[134:135], v[2:3], v[134:135]                // 000000006C28: D3B14086 18030D02
	v_mov_b32_e32 v2, v30                                      // 000000006C30: 7E04031E
	v_mov_b32_e32 v3, v30                                      // 000000006C34: 7E06031E
	v_pk_mul_f32 v[112:113], v[2:3], v[112:113]                // 000000006C38: D3B14070 1802E102
	v_pk_mul_f32 v[114:115], v[2:3], v[114:115]                // 000000006C40: D3B14072 1802E502
	v_pk_mul_f32 v[120:121], v[2:3], v[120:121]                // 000000006C48: D3B14078 1802F102
	v_pk_mul_f32 v[122:123], v[2:3], v[122:123]                // 000000006C50: D3B1407A 1802F502
	v_pk_mul_f32 v[128:129], v[2:3], v[128:129]                // 000000006C58: D3B14080 18030102
	v_pk_mul_f32 v[130:131], v[2:3], v[130:131]                // 000000006C60: D3B14082 18030502
	v_pk_mul_f32 v[136:137], v[2:3], v[136:137]                // 000000006C68: D3B14088 18031102
	v_pk_mul_f32 v[138:139], v[2:3], v[138:139]                // 000000006C70: D3B1408A 18031502
	v_cvt_pkrtz_f16_f32 v108, v108, v109                       // 000000006C78: D296006C 0002DB6C
	v_cvt_pkrtz_f16_f32 v109, v110, v111                       // 000000006C80: D296006D 0002DF6E
	v_cvt_pkrtz_f16_f32 v110, v112, v113                       // 000000006C88: D296006E 0002E370
	v_cvt_pkrtz_f16_f32 v111, v114, v115                       // 000000006C90: D296006F 0002E772
	v_cvt_pkrtz_f16_f32 v112, v116, v117                       // 000000006C98: D2960070 0002EB74
	v_cvt_pkrtz_f16_f32 v113, v118, v119                       // 000000006CA0: D2960071 0002EF76
	v_cvt_pkrtz_f16_f32 v114, v120, v121                       // 000000006CA8: D2960072 0002F378
	v_cvt_pkrtz_f16_f32 v115, v122, v123                       // 000000006CB0: D2960073 0002F77A
	v_cvt_pkrtz_f16_f32 v116, v124, v125                       // 000000006CB8: D2960074 0002FB7C
	v_cvt_pkrtz_f16_f32 v117, v126, v127                       // 000000006CC0: D2960075 0002FF7E
	v_cvt_pkrtz_f16_f32 v118, v128, v129                       // 000000006CC8: D2960076 00030380
	v_cvt_pkrtz_f16_f32 v119, v130, v131                       // 000000006CD0: D2960077 00030782
	v_cvt_pkrtz_f16_f32 v120, v132, v133                       // 000000006CD8: D2960078 00030B84
	v_cvt_pkrtz_f16_f32 v121, v134, v135                       // 000000006CE0: D2960079 00030F86
	v_cvt_pkrtz_f16_f32 v122, v136, v137                       // 000000006CE8: D296007A 00031388
	v_cvt_pkrtz_f16_f32 v123, v138, v139                       // 000000006CF0: D296007B 0003178A
	s_cmp_ge_u32 s80, 0x200                                    // 000000006CF8: BF09FF50 00000200
	s_cselect_b32 s59, 0x200, s59                              // 000000006D00: 853B3BFF 00000200
	s_mov_b64 exec, s[20:21]                                   // 000000006D08: BEFE0114
	global_atomic_pk_add_f16 v92, v76, s[8:9]                  // 000000006D0C: DD388000 00084C5C
	s_mov_b64 exec, s[36:37]                                   // 000000006D14: BEFE0124
	s_mov_b64 exec, s[20:21]                                   // 000000006D18: BEFE0114
	global_atomic_pk_add_f16 v92, v77, s[8:9] offset:256       // 000000006D1C: DD388100 00084D5C
	s_mov_b64 exec, s[36:37]                                   // 000000006D24: BEFE0124
	s_mov_b64 exec, s[22:23]                                   // 000000006D28: BEFE0116
	global_atomic_pk_add_f16 v94, v78, s[8:9]                  // 000000006D2C: DD388000 00084E5E
	s_mov_b64 exec, s[36:37]                                   // 000000006D34: BEFE0124
	s_mov_b64 exec, s[22:23]                                   // 000000006D38: BEFE0116
	global_atomic_pk_add_f16 v94, v79, s[8:9] offset:256       // 000000006D3C: DD388100 00084F5E
	s_mov_b64 exec, s[36:37]                                   // 000000006D44: BEFE0124
	s_mov_b64 exec, s[24:25]                                   // 000000006D48: BEFE0118
	global_atomic_pk_add_f16 v96, v80, s[8:9]                  // 000000006D4C: DD388000 00085060
	s_mov_b64 exec, s[36:37]                                   // 000000006D54: BEFE0124
	s_mov_b64 exec, s[24:25]                                   // 000000006D58: BEFE0118
	global_atomic_pk_add_f16 v96, v81, s[8:9] offset:256       // 000000006D5C: DD388100 00085160
	s_mov_b64 exec, s[36:37]                                   // 000000006D64: BEFE0124
	s_mov_b64 exec, s[26:27]                                   // 000000006D68: BEFE011A
	global_atomic_pk_add_f16 v98, v82, s[8:9]                  // 000000006D6C: DD388000 00085262
	s_mov_b64 exec, s[36:37]                                   // 000000006D74: BEFE0124
	s_mov_b64 exec, s[26:27]                                   // 000000006D78: BEFE011A
	global_atomic_pk_add_f16 v98, v83, s[8:9] offset:256       // 000000006D7C: DD388100 00085362
	s_mov_b64 exec, s[36:37]                                   // 000000006D84: BEFE0124
	s_mov_b64 exec, s[28:29]                                   // 000000006D88: BEFE011C
	global_atomic_pk_add_f16 v100, v84, s[8:9]                 // 000000006D8C: DD388000 00085464
	s_mov_b64 exec, s[36:37]                                   // 000000006D94: BEFE0124
	s_mov_b64 exec, s[28:29]                                   // 000000006D98: BEFE011C
	global_atomic_pk_add_f16 v100, v85, s[8:9] offset:256      // 000000006D9C: DD388100 00085564
	s_mov_b64 exec, s[36:37]                                   // 000000006DA4: BEFE0124
	s_mov_b64 exec, s[30:31]                                   // 000000006DA8: BEFE011E
	global_atomic_pk_add_f16 v102, v86, s[8:9]                 // 000000006DAC: DD388000 00085666
	s_mov_b64 exec, s[36:37]                                   // 000000006DB4: BEFE0124
	s_mov_b64 exec, s[30:31]                                   // 000000006DB8: BEFE011E
	global_atomic_pk_add_f16 v102, v87, s[8:9] offset:256      // 000000006DBC: DD388100 00085766
	s_mov_b64 exec, s[36:37]                                   // 000000006DC4: BEFE0124
	s_mov_b64 exec, s[32:33]                                   // 000000006DC8: BEFE0120
	global_atomic_pk_add_f16 v104, v88, s[8:9]                 // 000000006DCC: DD388000 00085868
	s_mov_b64 exec, s[36:37]                                   // 000000006DD4: BEFE0124
	s_mov_b64 exec, s[32:33]                                   // 000000006DD8: BEFE0120
	global_atomic_pk_add_f16 v104, v89, s[8:9] offset:256      // 000000006DDC: DD388100 00085968
	s_mov_b64 exec, s[36:37]                                   // 000000006DE4: BEFE0124
	s_mov_b64 exec, s[34:35]                                   // 000000006DE8: BEFE0122
	global_atomic_pk_add_f16 v106, v90, s[8:9]                 // 000000006DEC: DD388000 00085A6A
	s_mov_b64 exec, s[36:37]                                   // 000000006DF4: BEFE0124
	s_mov_b64 exec, s[34:35]                                   // 000000006DF8: BEFE0122
	global_atomic_pk_add_f16 v106, v91, s[8:9] offset:256      // 000000006DFC: DD388100 00085B6A
	s_mov_b64 exec, s[36:37]                                   // 000000006E04: BEFE0124
	s_add_u32 s8, s59, s8                                      // 000000006E08: 8008083B
	s_addc_u32 s9, 0, s9                                       // 000000006E0C: 82090980
	s_addk_i32 s80, 0x100                                      // 000000006E10: B7500100
	s_cmp_lt_i32 s80, s81                                      // 000000006E14: BF045150
	s_cbranch_scc0 label_09AB                                  // 000000006E18: BF84F9A4
	s_waitcnt vmcnt(22) lgkmcnt(0)                             // 000000006E1C: BF8C4076
	s_barrier                                                  // 000000006E20: BF8A0000
	v_mfma_scale_f32_16x16x128_f8f6f4 v[140:143], a[32:35], v[44:47], 0, v23, v31 op_sel_hi:[0,0,0] cbsz:4 blgp:4// 000000006E24: D3AC6000 00023F17 D3AD0C8C 8A025920
	buffer_load_dwordx4 a[0:3], v40, s[12:15], 0 offen         // 000000006E34: E05C1000 80830028
	v_mfma_scale_f32_16x16x128_f8f6f4 v[144:147], a[32:35], v[52:55], 0, v23, v31 op_sel_hi:[0,0,0] cbsz:4 blgp:4// 000000006E3C: D3AC7000 00023F17 D3AD0C90 8A026920
	ds_read_b32 v76, v9 offset:17408                           // 000000006E4C: D86C4400 4C000009
	ds_read_b32 v77, v9 offset:21760                           // 000000006E54: D86C5500 4D000009
	ds_read_b32 v78, v9 offset:17416                           // 000000006E5C: D86C4408 4E000009
	ds_read_b32 v79, v9 offset:21768                           // 000000006E64: D86C5508 4F000009
	v_mfma_scale_f32_16x16x128_f8f6f4 v[148:151], a[36:39], v[44:47], 0, v23, v31 op_sel_hi:[0,0,0] cbsz:4 blgp:4// 000000006E6C: D3AC6800 00023F17 D3AD0C94 8A025924
	buffer_load_dwordx4 a[4:7], v41, s[12:15], 0 offen         // 000000006E7C: E05C1000 80830429
	buffer_load_dword v21, v10, s[16:19], 0 offen              // 000000006E84: E0501000 8004150A
	buffer_load_dword v22, v11, s[16:19], 0 offen              // 000000006E8C: E0501000 8004160B
	v_mfma_scale_f32_16x16x128_f8f6f4 v[152:155], a[36:39], v[52:55], 0, v23, v31 op_sel_hi:[0,0,0] cbsz:4 blgp:4// 000000006E94: D3AC7800 00023F17 D3AD0C98 8A026924
	ds_read_b32 v80, v9 offset:17440                           // 000000006EA4: D86C4420 50000009
	ds_read_b32 v81, v9 offset:21792                           // 000000006EAC: D86C5520 51000009
	ds_read_b32 v82, v9 offset:17448                           // 000000006EB4: D86C4428 52000009
	ds_read_b32 v83, v9 offset:21800                           // 000000006EBC: D86C5528 53000009
	s_waitcnt vmcnt(24)                                        // 000000006EC4: BF8C4F78
	v_mfma_scale_f32_16x16x128_f8f6f4 v[156:159], a[40:43], v[44:47], 0, v24, v31 op_sel_hi:[0,0,0] cbsz:4 blgp:4// 000000006EC8: D3AC6000 00023F18 D3AD0C9C 8A025928
	buffer_load_dwordx4 a[8:11], v42, s[12:15], 0 offen        // 000000006ED8: E05C1000 8083082A
	v_mfma_scale_f32_16x16x128_f8f6f4 v[160:163], a[40:43], v[52:55], 0, v24, v31 op_sel_hi:[0,0,0] cbsz:4 blgp:4// 000000006EE0: D3AC7000 00023F18 D3AD0CA0 8A026928
	ds_read_b32 v84, v9 offset:26112                           // 000000006EF0: D86C6600 54000009
	ds_read_b32 v85, v9 offset:30464                           // 000000006EF8: D86C7700 55000009
	ds_read_b32 v86, v9 offset:26120                           // 000000006F00: D86C6608 56000009
	ds_read_b32 v87, v9 offset:30472                           // 000000006F08: D86C7708 57000009
	v_mfma_scale_f32_16x16x128_f8f6f4 v[164:167], a[44:47], v[44:47], 0, v24, v31 op_sel_hi:[0,0,0] cbsz:4 blgp:4// 000000006F10: D3AC6800 00023F18 D3AD0CA4 8A02592C
	buffer_load_dwordx4 a[12:15], v43, s[12:15], 0 offen       // 000000006F20: E05C1000 80830C2B
	v_mfma_scale_f32_16x16x128_f8f6f4 v[168:171], a[44:47], v[52:55], 0, v24, v31 op_sel_hi:[0,0,0] cbsz:4 blgp:4// 000000006F28: D3AC7800 00023F18 D3AD0CA8 8A02692C
	ds_read_b32 v88, v9 offset:26144                           // 000000006F38: D86C6620 58000009
	ds_read_b32 v89, v9 offset:30496                           // 000000006F40: D86C7720 59000009
	ds_read_b32 v90, v9 offset:26152                           // 000000006F48: D86C6628 5A000009
	ds_read_b32 v91, v9 offset:30504                           // 000000006F50: D86C7728 5B000009
	s_waitcnt vmcnt(24)                                        // 000000006F58: BF8C4F78
	v_mfma_scale_f32_16x16x128_f8f6f4 v[140:143], a[48:51], v[48:51], v[140:143], v23, v31 op_sel_hi:[0,0,0] cbsz:4 blgp:4// 000000006F5C: D3AC6000 18023F17 D3AD0C8C 8E326130
	buffer_load_dwordx4 a[16:19], v40, s[12:15], 0 offen offset:1024// 000000006F6C: E05C1400 80831028
	v_mfma_scale_f32_16x16x128_f8f6f4 v[144:147], a[48:51], v[56:59], v[144:147], v23, v31 op_sel_hi:[0,0,0] cbsz:4 blgp:4// 000000006F74: D3AC7000 18023F17 D3AD0C90 8E427130
	ds_write_b64 v8, v[108:109]                                // 000000006F84: D89A0000 00006C08
	ds_write_b64 v8, v[110:111] offset:8704                    // 000000006F8C: D89A2200 00006E08
	v_mfma_scale_f32_16x16x128_f8f6f4 v[148:151], a[52:55], v[48:51], v[148:151], v23, v31 op_sel_hi:[0,0,0] cbsz:4 blgp:4// 000000006F94: D3AC6800 18023F17 D3AD0C94 8E526134
	buffer_load_dwordx4 a[20:23], v41, s[12:15], 0 offen offset:1024// 000000006FA4: E05C1400 80831429
	v_mfma_scale_f32_16x16x128_f8f6f4 v[152:155], a[52:55], v[56:59], v[152:155], v23, v31 op_sel_hi:[0,0,0] cbsz:4 blgp:4// 000000006FAC: D3AC7800 18023F17 D3AD0C98 8E627134
	ds_write_b64 v8, v[112:113] offset:544                     // 000000006FBC: D89A0220 00007008
	ds_write_b64 v8, v[114:115] offset:9248                    // 000000006FC4: D89A2420 00007208
	s_waitcnt vmcnt(24)                                        // 000000006FCC: BF8C4F78
	v_mfma_scale_f32_16x16x128_f8f6f4 v[156:159], a[56:59], v[48:51], v[156:159], v24, v31 op_sel_hi:[0,0,0] cbsz:4 blgp:4// 000000006FD0: D3AC6000 18023F18 D3AD0C9C 8E726138
	buffer_load_dwordx4 a[24:27], v42, s[12:15], 0 offen offset:1024// 000000006FE0: E05C1400 8083182A
	v_mfma_scale_f32_16x16x128_f8f6f4 v[160:163], a[56:59], v[56:59], v[160:163], v24, v31 op_sel_hi:[0,0,0] cbsz:4 blgp:4// 000000006FE8: D3AC7000 18023F18 D3AD0CA0 8E827138
	ds_write_b64 v8, v[116:117] offset:4352                    // 000000006FF8: D89A1100 00007408
	ds_write_b64 v8, v[118:119] offset:13056                   // 000000007000: D89A3300 00007608
	v_mfma_scale_f32_16x16x128_f8f6f4 v[164:167], a[60:63], v[48:51], v[164:167], v24, v31 op_sel_hi:[0,0,0] cbsz:4 blgp:4// 000000007008: D3AC6800 18023F18 D3AD0CA4 8E92613C
	buffer_load_dwordx4 a[28:31], v43, s[12:15], 0 offen offset:1024// 000000007018: E05C1400 80831C2B
	v_mfma_scale_f32_16x16x128_f8f6f4 v[168:171], a[60:63], v[56:59], v[168:171], v24, v31 op_sel_hi:[0,0,0] cbsz:4 blgp:4// 000000007020: D3AC7800 18023F18 D3AD0CA8 8EA2713C
	ds_write_b64 v8, v[120:121] offset:4896                    // 000000007030: D89A1320 00007808
	ds_write_b64 v8, v[122:123] offset:13600                   // 000000007038: D89A3520 00007A08
	s_add_u32 s60, 0x200, s80                                  // 000000007040: 803C50FF 00000200
	s_cmp_lt_u32 s60, s81                                      // 000000007048: BF0A513C
	s_cselect_b32 s56, s56, 0                                  // 00000000704C: 85388038
	s_cselect_b32 s78, s78, 0                                  // 000000007050: 854E804E
	s_cselect_b32 s79, s79, 0                                  // 000000007054: 854F804F
	s_add_u32 s12, s56, s12                                    // 000000007058: 800C0C38
	s_addc_u32 s13, 0, s13                                     // 00000000705C: 820D0D80
	s_add_u32 s16, s79, s16                                    // 000000007060: 8010104F
	s_addc_u32 s17, 0, s17                                     // 000000007064: 82111180
	v_mov_b32_e32 v2, v29                                      // 000000007068: 7E04031D
	v_mov_b32_e32 v3, v29                                      // 00000000706C: 7E06031D
	v_pk_mul_f32 v[140:141], v[2:3], v[140:141]                // 000000007070: D3B1408C 18031902
	v_pk_mul_f32 v[142:143], v[2:3], v[142:143]                // 000000007078: D3B1408E 18031D02
	v_pk_mul_f32 v[148:149], v[2:3], v[148:149]                // 000000007080: D3B14094 18032902
	v_pk_mul_f32 v[150:151], v[2:3], v[150:151]                // 000000007088: D3B14096 18032D02
	v_pk_mul_f32 v[156:157], v[2:3], v[156:157]                // 000000007090: D3B1409C 18033902
	v_pk_mul_f32 v[158:159], v[2:3], v[158:159]                // 000000007098: D3B1409E 18033D02
	v_pk_mul_f32 v[164:165], v[2:3], v[164:165]                // 0000000070A0: D3B140A4 18034902
	v_pk_mul_f32 v[166:167], v[2:3], v[166:167]                // 0000000070A8: D3B140A6 18034D02
	v_mov_b32_e32 v2, v30                                      // 0000000070B0: 7E04031E
	v_mov_b32_e32 v3, v30                                      // 0000000070B4: 7E06031E
	v_pk_mul_f32 v[144:145], v[2:3], v[144:145]                // 0000000070B8: D3B14090 18032102
	v_pk_mul_f32 v[146:147], v[2:3], v[146:147]                // 0000000070C0: D3B14092 18032502
	v_pk_mul_f32 v[152:153], v[2:3], v[152:153]                // 0000000070C8: D3B14098 18033102
	v_pk_mul_f32 v[154:155], v[2:3], v[154:155]                // 0000000070D0: D3B1409A 18033502
	v_pk_mul_f32 v[160:161], v[2:3], v[160:161]                // 0000000070D8: D3B140A0 18034102
	v_pk_mul_f32 v[162:163], v[2:3], v[162:163]                // 0000000070E0: D3B140A2 18034502
	v_pk_mul_f32 v[168:169], v[2:3], v[168:169]                // 0000000070E8: D3B140A8 18035102
	v_pk_mul_f32 v[170:171], v[2:3], v[170:171]                // 0000000070F0: D3B140AA 18035502
	v_cvt_pkrtz_f16_f32 v140, v140, v141                       // 0000000070F8: D296008C 00031B8C
	v_cvt_pkrtz_f16_f32 v141, v142, v143                       // 000000007100: D296008D 00031F8E
	v_cvt_pkrtz_f16_f32 v142, v144, v145                       // 000000007108: D296008E 00032390
	v_cvt_pkrtz_f16_f32 v143, v146, v147                       // 000000007110: D296008F 00032792
	v_cvt_pkrtz_f16_f32 v144, v148, v149                       // 000000007118: D2960090 00032B94
	v_cvt_pkrtz_f16_f32 v145, v150, v151                       // 000000007120: D2960091 00032F96
	v_cvt_pkrtz_f16_f32 v146, v152, v153                       // 000000007128: D2960092 00033398
	v_cvt_pkrtz_f16_f32 v147, v154, v155                       // 000000007130: D2960093 0003379A
	v_cvt_pkrtz_f16_f32 v148, v156, v157                       // 000000007138: D2960094 00033B9C
	v_cvt_pkrtz_f16_f32 v149, v158, v159                       // 000000007140: D2960095 00033F9E
	v_cvt_pkrtz_f16_f32 v150, v160, v161                       // 000000007148: D2960096 000343A0
	v_cvt_pkrtz_f16_f32 v151, v162, v163                       // 000000007150: D2960097 000347A2
	v_cvt_pkrtz_f16_f32 v152, v164, v165                       // 000000007158: D2960098 00034BA4
	v_cvt_pkrtz_f16_f32 v153, v166, v167                       // 000000007160: D2960099 00034FA6
	v_cvt_pkrtz_f16_f32 v154, v168, v169                       // 000000007168: D296009A 000353A8
	v_cvt_pkrtz_f16_f32 v155, v170, v171                       // 000000007170: D296009B 000357AA
	s_cmp_ge_u32 s80, 0x200                                    // 000000007178: BF09FF50 00000200
	s_cselect_b32 s59, 0x200, s59                              // 000000007180: 853B3BFF 00000200
	s_mov_b64 exec, s[20:21]                                   // 000000007188: BEFE0114
	global_atomic_pk_add_f16 v92, v76, s[8:9]                  // 00000000718C: DD388000 00084C5C
	s_mov_b64 exec, s[36:37]                                   // 000000007194: BEFE0124
	s_mov_b64 exec, s[20:21]                                   // 000000007198: BEFE0114
	global_atomic_pk_add_f16 v92, v77, s[8:9] offset:256       // 00000000719C: DD388100 00084D5C
	s_mov_b64 exec, s[36:37]                                   // 0000000071A4: BEFE0124
	s_mov_b64 exec, s[22:23]                                   // 0000000071A8: BEFE0116
	global_atomic_pk_add_f16 v94, v78, s[8:9]                  // 0000000071AC: DD388000 00084E5E
	s_mov_b64 exec, s[36:37]                                   // 0000000071B4: BEFE0124
	s_mov_b64 exec, s[22:23]                                   // 0000000071B8: BEFE0116
	global_atomic_pk_add_f16 v94, v79, s[8:9] offset:256       // 0000000071BC: DD388100 00084F5E
	s_mov_b64 exec, s[36:37]                                   // 0000000071C4: BEFE0124
	s_mov_b64 exec, s[24:25]                                   // 0000000071C8: BEFE0118
	global_atomic_pk_add_f16 v96, v80, s[8:9]                  // 0000000071CC: DD388000 00085060
	s_mov_b64 exec, s[36:37]                                   // 0000000071D4: BEFE0124
	s_mov_b64 exec, s[24:25]                                   // 0000000071D8: BEFE0118
	global_atomic_pk_add_f16 v96, v81, s[8:9] offset:256       // 0000000071DC: DD388100 00085160
	s_mov_b64 exec, s[36:37]                                   // 0000000071E4: BEFE0124
	s_mov_b64 exec, s[26:27]                                   // 0000000071E8: BEFE011A
	global_atomic_pk_add_f16 v98, v82, s[8:9]                  // 0000000071EC: DD388000 00085262
	s_mov_b64 exec, s[36:37]                                   // 0000000071F4: BEFE0124
	s_mov_b64 exec, s[26:27]                                   // 0000000071F8: BEFE011A
	global_atomic_pk_add_f16 v98, v83, s[8:9] offset:256       // 0000000071FC: DD388100 00085362
	s_mov_b64 exec, s[36:37]                                   // 000000007204: BEFE0124
	s_mov_b64 exec, s[28:29]                                   // 000000007208: BEFE011C
	global_atomic_pk_add_f16 v100, v84, s[8:9]                 // 00000000720C: DD388000 00085464
	s_mov_b64 exec, s[36:37]                                   // 000000007214: BEFE0124
	s_mov_b64 exec, s[28:29]                                   // 000000007218: BEFE011C
	global_atomic_pk_add_f16 v100, v85, s[8:9] offset:256      // 00000000721C: DD388100 00085564
	s_mov_b64 exec, s[36:37]                                   // 000000007224: BEFE0124
	s_mov_b64 exec, s[30:31]                                   // 000000007228: BEFE011E
	global_atomic_pk_add_f16 v102, v86, s[8:9]                 // 00000000722C: DD388000 00085666
	s_mov_b64 exec, s[36:37]                                   // 000000007234: BEFE0124
	s_mov_b64 exec, s[30:31]                                   // 000000007238: BEFE011E
	global_atomic_pk_add_f16 v102, v87, s[8:9] offset:256      // 00000000723C: DD388100 00085766
	s_mov_b64 exec, s[36:37]                                   // 000000007244: BEFE0124
	s_mov_b64 exec, s[32:33]                                   // 000000007248: BEFE0120
	global_atomic_pk_add_f16 v104, v88, s[8:9]                 // 00000000724C: DD388000 00085868
	s_mov_b64 exec, s[36:37]                                   // 000000007254: BEFE0124
	s_mov_b64 exec, s[32:33]                                   // 000000007258: BEFE0120
	global_atomic_pk_add_f16 v104, v89, s[8:9] offset:256      // 00000000725C: DD388100 00085968
	s_mov_b64 exec, s[36:37]                                   // 000000007264: BEFE0124
	s_mov_b64 exec, s[34:35]                                   // 000000007268: BEFE0122
	global_atomic_pk_add_f16 v106, v90, s[8:9]                 // 00000000726C: DD388000 00085A6A
	s_mov_b64 exec, s[36:37]                                   // 000000007274: BEFE0124
	s_mov_b64 exec, s[34:35]                                   // 000000007278: BEFE0122
	global_atomic_pk_add_f16 v106, v91, s[8:9] offset:256      // 00000000727C: DD388100 00085B6A
	s_mov_b64 exec, s[36:37]                                   // 000000007284: BEFE0124
	s_add_u32 s8, s59, s8                                      // 000000007288: 8008083B
	s_addc_u32 s9, 0, s9                                       // 00000000728C: 82090980
	s_addk_i32 s80, 0x100                                      // 000000007290: B7500100
	s_cmp_lt_i32 s80, s81                                      // 000000007294: BF045150
	s_cbranch_scc0 label_09AB                                  // 000000007298: BF84F884
	s_branch label_0EE7                                        // 00000000729C: BF82FDBF

00000000000072a0 <label_1128>:
	s_cmp_ge_u32 s59, 0                                        // 0000000072A0: BF09803B
	s_cselect_b32 s59, 0x200, s59                              // 0000000072A4: 853B3BFF 00000200
	s_waitcnt lgkmcnt(0)                                       // 0000000072AC: BF8CC07F
	s_barrier                                                  // 0000000072B0: BF8A0000
	s_cmp_eq_u32 s64, 0x100                                    // 0000000072B4: BF06FF40 00000100
	s_cbranch_scc0 label_11A4                                  // 0000000072BC: BF840074
	ds_write_b64 v8, v[108:109]                                // 0000000072C0: D89A0000 00006C08
	ds_write_b64 v8, v[110:111] offset:8704                    // 0000000072C8: D89A2200 00006E08
	ds_write_b64 v8, v[112:113] offset:544                     // 0000000072D0: D89A0220 00007008
	ds_write_b64 v8, v[114:115] offset:9248                    // 0000000072D8: D89A2420 00007208
	ds_write_b64 v8, v[116:117] offset:4352                    // 0000000072E0: D89A1100 00007408
	ds_write_b64 v8, v[118:119] offset:13056                   // 0000000072E8: D89A3300 00007608
	ds_write_b64 v8, v[120:121] offset:4896                    // 0000000072F0: D89A1320 00007808
	ds_write_b64 v8, v[122:123] offset:13600                   // 0000000072F8: D89A3520 00007A08
	s_waitcnt lgkmcnt(0)                                       // 000000007300: BF8CC07F
	s_barrier                                                  // 000000007304: BF8A0000
	ds_read_b32 v76, v9                                        // 000000007308: D86C0000 4C000009
	ds_read_b32 v77, v9 offset:4352                            // 000000007310: D86C1100 4D000009
	ds_read_b32 v78, v9 offset:8                               // 000000007318: D86C0008 4E000009
	ds_read_b32 v79, v9 offset:4360                            // 000000007320: D86C1108 4F000009
	ds_read_b32 v80, v9 offset:32                              // 000000007328: D86C0020 50000009
	ds_read_b32 v81, v9 offset:4384                            // 000000007330: D86C1120 51000009
	ds_read_b32 v82, v9 offset:40                              // 000000007338: D86C0028 52000009
	ds_read_b32 v83, v9 offset:4392                            // 000000007340: D86C1128 53000009
	ds_read_b32 v84, v9 offset:8704                            // 000000007348: D86C2200 54000009
	ds_read_b32 v85, v9 offset:13056                           // 000000007350: D86C3300 55000009
	ds_read_b32 v86, v9 offset:8712                            // 000000007358: D86C2208 56000009
	ds_read_b32 v87, v9 offset:13064                           // 000000007360: D86C3308 57000009
	ds_read_b32 v88, v9 offset:8736                            // 000000007368: D86C2220 58000009
	ds_read_b32 v89, v9 offset:13088                           // 000000007370: D86C3320 59000009
	ds_read_b32 v90, v9 offset:8744                            // 000000007378: D86C2228 5A000009
	ds_read_b32 v91, v9 offset:13096                           // 000000007380: D86C3328 5B000009
	s_waitcnt lgkmcnt(0)                                       // 000000007388: BF8CC07F
	s_mov_b64 exec, s[20:21]                                   // 00000000738C: BEFE0114
	global_atomic_pk_add_f16 v92, v76, s[8:9]                  // 000000007390: DD388000 00084C5C
	s_mov_b64 exec, s[36:37]                                   // 000000007398: BEFE0124
	s_mov_b64 exec, s[20:21]                                   // 00000000739C: BEFE0114
	global_atomic_pk_add_f16 v92, v77, s[8:9] offset:256       // 0000000073A0: DD388100 00084D5C
	s_mov_b64 exec, s[36:37]                                   // 0000000073A8: BEFE0124
	s_mov_b64 exec, s[22:23]                                   // 0000000073AC: BEFE0116
	global_atomic_pk_add_f16 v94, v78, s[8:9]                  // 0000000073B0: DD388000 00084E5E
	s_mov_b64 exec, s[36:37]                                   // 0000000073B8: BEFE0124
	s_mov_b64 exec, s[22:23]                                   // 0000000073BC: BEFE0116
	global_atomic_pk_add_f16 v94, v79, s[8:9] offset:256       // 0000000073C0: DD388100 00084F5E
	s_mov_b64 exec, s[36:37]                                   // 0000000073C8: BEFE0124
	s_mov_b64 exec, s[24:25]                                   // 0000000073CC: BEFE0118
	global_atomic_pk_add_f16 v96, v80, s[8:9]                  // 0000000073D0: DD388000 00085060
	s_mov_b64 exec, s[36:37]                                   // 0000000073D8: BEFE0124
	s_mov_b64 exec, s[24:25]                                   // 0000000073DC: BEFE0118
	global_atomic_pk_add_f16 v96, v81, s[8:9] offset:256       // 0000000073E0: DD388100 00085160
	s_mov_b64 exec, s[36:37]                                   // 0000000073E8: BEFE0124
	s_mov_b64 exec, s[26:27]                                   // 0000000073EC: BEFE011A
	global_atomic_pk_add_f16 v98, v82, s[8:9]                  // 0000000073F0: DD388000 00085262
	s_mov_b64 exec, s[36:37]                                   // 0000000073F8: BEFE0124
	s_mov_b64 exec, s[26:27]                                   // 0000000073FC: BEFE011A
	global_atomic_pk_add_f16 v98, v83, s[8:9] offset:256       // 000000007400: DD388100 00085362
	s_mov_b64 exec, s[36:37]                                   // 000000007408: BEFE0124
	s_mov_b64 exec, s[28:29]                                   // 00000000740C: BEFE011C
	global_atomic_pk_add_f16 v100, v84, s[8:9]                 // 000000007410: DD388000 00085464
	s_mov_b64 exec, s[36:37]                                   // 000000007418: BEFE0124
	s_mov_b64 exec, s[28:29]                                   // 00000000741C: BEFE011C
	global_atomic_pk_add_f16 v100, v85, s[8:9] offset:256      // 000000007420: DD388100 00085564
	s_mov_b64 exec, s[36:37]                                   // 000000007428: BEFE0124
	s_mov_b64 exec, s[30:31]                                   // 00000000742C: BEFE011E
	global_atomic_pk_add_f16 v102, v86, s[8:9]                 // 000000007430: DD388000 00085666
	s_mov_b64 exec, s[36:37]                                   // 000000007438: BEFE0124
	s_mov_b64 exec, s[30:31]                                   // 00000000743C: BEFE011E
	global_atomic_pk_add_f16 v102, v87, s[8:9] offset:256      // 000000007440: DD388100 00085766
	s_mov_b64 exec, s[36:37]                                   // 000000007448: BEFE0124
	s_mov_b64 exec, s[32:33]                                   // 00000000744C: BEFE0120
	global_atomic_pk_add_f16 v104, v88, s[8:9]                 // 000000007450: DD388000 00085868
	s_mov_b64 exec, s[36:37]                                   // 000000007458: BEFE0124
	s_mov_b64 exec, s[32:33]                                   // 00000000745C: BEFE0120
	global_atomic_pk_add_f16 v104, v89, s[8:9] offset:256      // 000000007460: DD388100 00085968
	s_mov_b64 exec, s[36:37]                                   // 000000007468: BEFE0124
	s_mov_b64 exec, s[34:35]                                   // 00000000746C: BEFE0122
	global_atomic_pk_add_f16 v106, v90, s[8:9]                 // 000000007470: DD388000 00085A6A
	s_mov_b64 exec, s[36:37]                                   // 000000007478: BEFE0124
	s_mov_b64 exec, s[34:35]                                   // 00000000747C: BEFE0122
	global_atomic_pk_add_f16 v106, v91, s[8:9] offset:256      // 000000007480: DD388100 00085B6A
	s_mov_b64 exec, s[36:37]                                   // 000000007488: BEFE0124
	s_branch label_127A                                        // 00000000748C: BF8200D6

0000000000007490 <label_11A4>:
	ds_read_b32 v76, v9                                        // 000000007490: D86C0000 4C000009
	ds_read_b32 v77, v9 offset:4352                            // 000000007498: D86C1100 4D000009
	ds_read_b32 v78, v9 offset:8                               // 0000000074A0: D86C0008 4E000009
	ds_read_b32 v79, v9 offset:4360                            // 0000000074A8: D86C1108 4F000009
	ds_read_b32 v80, v9 offset:32                              // 0000000074B0: D86C0020 50000009
	ds_read_b32 v81, v9 offset:4384                            // 0000000074B8: D86C1120 51000009
	ds_read_b32 v82, v9 offset:40                              // 0000000074C0: D86C0028 52000009
	ds_read_b32 v83, v9 offset:4392                            // 0000000074C8: D86C1128 53000009
	ds_read_b32 v84, v9 offset:8704                            // 0000000074D0: D86C2200 54000009
	ds_read_b32 v85, v9 offset:13056                           // 0000000074D8: D86C3300 55000009
	ds_read_b32 v86, v9 offset:8712                            // 0000000074E0: D86C2208 56000009
	ds_read_b32 v87, v9 offset:13064                           // 0000000074E8: D86C3308 57000009
	ds_read_b32 v88, v9 offset:8736                            // 0000000074F0: D86C2220 58000009
	ds_read_b32 v89, v9 offset:13088                           // 0000000074F8: D86C3320 59000009
	ds_read_b32 v90, v9 offset:8744                            // 000000007500: D86C2228 5A000009
	ds_read_b32 v91, v9 offset:13096                           // 000000007508: D86C3328 5B000009
	s_waitcnt lgkmcnt(0)                                       // 000000007510: BF8CC07F
	s_mov_b64 exec, s[20:21]                                   // 000000007514: BEFE0114
	global_atomic_pk_add_f16 v92, v76, s[8:9]                  // 000000007518: DD388000 00084C5C
	s_mov_b64 exec, s[36:37]                                   // 000000007520: BEFE0124
	s_mov_b64 exec, s[20:21]                                   // 000000007524: BEFE0114
	global_atomic_pk_add_f16 v92, v77, s[8:9] offset:256       // 000000007528: DD388100 00084D5C
	s_mov_b64 exec, s[36:37]                                   // 000000007530: BEFE0124
	s_mov_b64 exec, s[22:23]                                   // 000000007534: BEFE0116
	global_atomic_pk_add_f16 v94, v78, s[8:9]                  // 000000007538: DD388000 00084E5E
	s_mov_b64 exec, s[36:37]                                   // 000000007540: BEFE0124
	s_mov_b64 exec, s[22:23]                                   // 000000007544: BEFE0116
	global_atomic_pk_add_f16 v94, v79, s[8:9] offset:256       // 000000007548: DD388100 00084F5E
	s_mov_b64 exec, s[36:37]                                   // 000000007550: BEFE0124
	s_mov_b64 exec, s[24:25]                                   // 000000007554: BEFE0118
	global_atomic_pk_add_f16 v96, v80, s[8:9]                  // 000000007558: DD388000 00085060
	s_mov_b64 exec, s[36:37]                                   // 000000007560: BEFE0124
	s_mov_b64 exec, s[24:25]                                   // 000000007564: BEFE0118
	global_atomic_pk_add_f16 v96, v81, s[8:9] offset:256       // 000000007568: DD388100 00085160
	s_mov_b64 exec, s[36:37]                                   // 000000007570: BEFE0124
	s_mov_b64 exec, s[26:27]                                   // 000000007574: BEFE011A
	global_atomic_pk_add_f16 v98, v82, s[8:9]                  // 000000007578: DD388000 00085262
	s_mov_b64 exec, s[36:37]                                   // 000000007580: BEFE0124
	s_mov_b64 exec, s[26:27]                                   // 000000007584: BEFE011A
	global_atomic_pk_add_f16 v98, v83, s[8:9] offset:256       // 000000007588: DD388100 00085362
	s_mov_b64 exec, s[36:37]                                   // 000000007590: BEFE0124
	s_mov_b64 exec, s[28:29]                                   // 000000007594: BEFE011C
	global_atomic_pk_add_f16 v100, v84, s[8:9]                 // 000000007598: DD388000 00085464
	s_mov_b64 exec, s[36:37]                                   // 0000000075A0: BEFE0124
	s_mov_b64 exec, s[28:29]                                   // 0000000075A4: BEFE011C
	global_atomic_pk_add_f16 v100, v85, s[8:9] offset:256      // 0000000075A8: DD388100 00085564
	s_mov_b64 exec, s[36:37]                                   // 0000000075B0: BEFE0124
	s_mov_b64 exec, s[30:31]                                   // 0000000075B4: BEFE011E
	global_atomic_pk_add_f16 v102, v86, s[8:9]                 // 0000000075B8: DD388000 00085666
	s_mov_b64 exec, s[36:37]                                   // 0000000075C0: BEFE0124
	s_mov_b64 exec, s[30:31]                                   // 0000000075C4: BEFE011E
	global_atomic_pk_add_f16 v102, v87, s[8:9] offset:256      // 0000000075C8: DD388100 00085766
	s_mov_b64 exec, s[36:37]                                   // 0000000075D0: BEFE0124
	s_mov_b64 exec, s[32:33]                                   // 0000000075D4: BEFE0120
	global_atomic_pk_add_f16 v104, v88, s[8:9]                 // 0000000075D8: DD388000 00085868
	s_mov_b64 exec, s[36:37]                                   // 0000000075E0: BEFE0124
	s_mov_b64 exec, s[32:33]                                   // 0000000075E4: BEFE0120
	global_atomic_pk_add_f16 v104, v89, s[8:9] offset:256      // 0000000075E8: DD388100 00085968
	s_mov_b64 exec, s[36:37]                                   // 0000000075F0: BEFE0124
	s_mov_b64 exec, s[34:35]                                   // 0000000075F4: BEFE0122
	global_atomic_pk_add_f16 v106, v90, s[8:9]                 // 0000000075F8: DD388000 00085A6A
	s_mov_b64 exec, s[36:37]                                   // 000000007600: BEFE0124
	s_mov_b64 exec, s[34:35]                                   // 000000007604: BEFE0122
	global_atomic_pk_add_f16 v106, v91, s[8:9] offset:256      // 000000007608: DD388100 00085B6A
	s_mov_b64 exec, s[36:37]                                   // 000000007610: BEFE0124
	s_add_u32 s8, s59, s8                                      // 000000007614: 8008083B
	s_addc_u32 s9, 0, s9                                       // 000000007618: 82090980
	ds_write_b64 v8, v[140:141] offset:17408                   // 00000000761C: D89A4400 00008C08
	ds_write_b64 v8, v[142:143] offset:26112                   // 000000007624: D89A6600 00008E08
	ds_write_b64 v8, v[144:145] offset:17952                   // 00000000762C: D89A4620 00009008
	ds_write_b64 v8, v[146:147] offset:26656                   // 000000007634: D89A6820 00009208
	ds_write_b64 v8, v[148:149] offset:21760                   // 00000000763C: D89A5500 00009408
	ds_write_b64 v8, v[150:151] offset:30464                   // 000000007644: D89A7700 00009608
	ds_write_b64 v8, v[152:153] offset:22304                   // 00000000764C: D89A5720 00009808
	ds_write_b64 v8, v[154:155] offset:31008                   // 000000007654: D89A7920 00009A08
	s_waitcnt lgkmcnt(0)                                       // 00000000765C: BF8CC07F
	s_barrier                                                  // 000000007660: BF8A0000
	ds_read_b32 v76, v9 offset:17408                           // 000000007664: D86C4400 4C000009
	ds_read_b32 v77, v9 offset:21760                           // 00000000766C: D86C5500 4D000009
	ds_read_b32 v78, v9 offset:17416                           // 000000007674: D86C4408 4E000009
	ds_read_b32 v79, v9 offset:21768                           // 00000000767C: D86C5508 4F000009
	ds_read_b32 v80, v9 offset:17440                           // 000000007684: D86C4420 50000009
	ds_read_b32 v81, v9 offset:21792                           // 00000000768C: D86C5520 51000009
	ds_read_b32 v82, v9 offset:17448                           // 000000007694: D86C4428 52000009
	ds_read_b32 v83, v9 offset:21800                           // 00000000769C: D86C5528 53000009
	ds_read_b32 v84, v9 offset:26112                           // 0000000076A4: D86C6600 54000009
	ds_read_b32 v85, v9 offset:30464                           // 0000000076AC: D86C7700 55000009
	ds_read_b32 v86, v9 offset:26120                           // 0000000076B4: D86C6608 56000009
	ds_read_b32 v87, v9 offset:30472                           // 0000000076BC: D86C7708 57000009
	ds_read_b32 v88, v9 offset:26144                           // 0000000076C4: D86C6620 58000009
	ds_read_b32 v89, v9 offset:30496                           // 0000000076CC: D86C7720 59000009
	ds_read_b32 v90, v9 offset:26152                           // 0000000076D4: D86C6628 5A000009
	ds_read_b32 v91, v9 offset:30504                           // 0000000076DC: D86C7728 5B000009
	s_waitcnt lgkmcnt(0)                                       // 0000000076E4: BF8CC07F
	s_mov_b64 exec, s[20:21]                                   // 0000000076E8: BEFE0114
	global_atomic_pk_add_f16 v92, v76, s[8:9]                  // 0000000076EC: DD388000 00084C5C
	s_mov_b64 exec, s[36:37]                                   // 0000000076F4: BEFE0124
	s_mov_b64 exec, s[20:21]                                   // 0000000076F8: BEFE0114
	global_atomic_pk_add_f16 v92, v77, s[8:9] offset:256       // 0000000076FC: DD388100 00084D5C
	s_mov_b64 exec, s[36:37]                                   // 000000007704: BEFE0124
	s_mov_b64 exec, s[22:23]                                   // 000000007708: BEFE0116
	global_atomic_pk_add_f16 v94, v78, s[8:9]                  // 00000000770C: DD388000 00084E5E
	s_mov_b64 exec, s[36:37]                                   // 000000007714: BEFE0124
	s_mov_b64 exec, s[22:23]                                   // 000000007718: BEFE0116
	global_atomic_pk_add_f16 v94, v79, s[8:9] offset:256       // 00000000771C: DD388100 00084F5E
	s_mov_b64 exec, s[36:37]                                   // 000000007724: BEFE0124
	s_mov_b64 exec, s[24:25]                                   // 000000007728: BEFE0118
	global_atomic_pk_add_f16 v96, v80, s[8:9]                  // 00000000772C: DD388000 00085060
	s_mov_b64 exec, s[36:37]                                   // 000000007734: BEFE0124
	s_mov_b64 exec, s[24:25]                                   // 000000007738: BEFE0118
	global_atomic_pk_add_f16 v96, v81, s[8:9] offset:256       // 00000000773C: DD388100 00085160
	s_mov_b64 exec, s[36:37]                                   // 000000007744: BEFE0124
	s_mov_b64 exec, s[26:27]                                   // 000000007748: BEFE011A
	global_atomic_pk_add_f16 v98, v82, s[8:9]                  // 00000000774C: DD388000 00085262
	s_mov_b64 exec, s[36:37]                                   // 000000007754: BEFE0124
	s_mov_b64 exec, s[26:27]                                   // 000000007758: BEFE011A
	global_atomic_pk_add_f16 v98, v83, s[8:9] offset:256       // 00000000775C: DD388100 00085362
	s_mov_b64 exec, s[36:37]                                   // 000000007764: BEFE0124
	s_mov_b64 exec, s[28:29]                                   // 000000007768: BEFE011C
	global_atomic_pk_add_f16 v100, v84, s[8:9]                 // 00000000776C: DD388000 00085464
	s_mov_b64 exec, s[36:37]                                   // 000000007774: BEFE0124
	s_mov_b64 exec, s[28:29]                                   // 000000007778: BEFE011C
	global_atomic_pk_add_f16 v100, v85, s[8:9] offset:256      // 00000000777C: DD388100 00085564
	s_mov_b64 exec, s[36:37]                                   // 000000007784: BEFE0124
	s_mov_b64 exec, s[30:31]                                   // 000000007788: BEFE011E
	global_atomic_pk_add_f16 v102, v86, s[8:9]                 // 00000000778C: DD388000 00085666
	s_mov_b64 exec, s[36:37]                                   // 000000007794: BEFE0124
	s_mov_b64 exec, s[30:31]                                   // 000000007798: BEFE011E
	global_atomic_pk_add_f16 v102, v87, s[8:9] offset:256      // 00000000779C: DD388100 00085766
	s_mov_b64 exec, s[36:37]                                   // 0000000077A4: BEFE0124
	s_mov_b64 exec, s[32:33]                                   // 0000000077A8: BEFE0120
	global_atomic_pk_add_f16 v104, v88, s[8:9]                 // 0000000077AC: DD388000 00085868
	s_mov_b64 exec, s[36:37]                                   // 0000000077B4: BEFE0124
	s_mov_b64 exec, s[32:33]                                   // 0000000077B8: BEFE0120
	global_atomic_pk_add_f16 v104, v89, s[8:9] offset:256      // 0000000077BC: DD388100 00085968
	s_mov_b64 exec, s[36:37]                                   // 0000000077C4: BEFE0124
	s_mov_b64 exec, s[34:35]                                   // 0000000077C8: BEFE0122
	global_atomic_pk_add_f16 v106, v90, s[8:9]                 // 0000000077CC: DD388000 00085A6A
	s_mov_b64 exec, s[36:37]                                   // 0000000077D4: BEFE0124
	s_mov_b64 exec, s[34:35]                                   // 0000000077D8: BEFE0122
	global_atomic_pk_add_f16 v106, v91, s[8:9] offset:256      // 0000000077DC: DD388100 00085B6A
	s_mov_b64 exec, s[36:37]                                   // 0000000077E4: BEFE0124

00000000000077e8 <label_127A>:
	s_waitcnt vmcnt(0) expcnt(0) lgkmcnt(0)                    // 0000000077E8: BF8C0000
	s_endpgm                                                   // 0000000077EC: BF810000
